;; amdgpu-corpus repo=ROCm/rocFFT kind=compiled arch=gfx906 opt=O3
	.text
	.amdgcn_target "amdgcn-amd-amdhsa--gfx906"
	.amdhsa_code_object_version 6
	.protected	fft_rtc_fwd_len3000_factors_10_3_10_10_wgs_100_tpt_100_halfLds_dp_ip_CI_unitstride_sbrr_dirReg ; -- Begin function fft_rtc_fwd_len3000_factors_10_3_10_10_wgs_100_tpt_100_halfLds_dp_ip_CI_unitstride_sbrr_dirReg
	.globl	fft_rtc_fwd_len3000_factors_10_3_10_10_wgs_100_tpt_100_halfLds_dp_ip_CI_unitstride_sbrr_dirReg
	.p2align	8
	.type	fft_rtc_fwd_len3000_factors_10_3_10_10_wgs_100_tpt_100_halfLds_dp_ip_CI_unitstride_sbrr_dirReg,@function
fft_rtc_fwd_len3000_factors_10_3_10_10_wgs_100_tpt_100_halfLds_dp_ip_CI_unitstride_sbrr_dirReg: ; @fft_rtc_fwd_len3000_factors_10_3_10_10_wgs_100_tpt_100_halfLds_dp_ip_CI_unitstride_sbrr_dirReg
; %bb.0:
	s_load_dwordx2 s[2:3], s[4:5], 0x50
	s_load_dwordx4 s[8:11], s[4:5], 0x0
	s_load_dwordx2 s[12:13], s[4:5], 0x18
	v_mul_u32_u24_e32 v1, 0x290, v0
	v_add_u32_sdwa v5, s6, v1 dst_sel:DWORD dst_unused:UNUSED_PAD src0_sel:DWORD src1_sel:WORD_1
	v_mov_b32_e32 v3, 0
	s_waitcnt lgkmcnt(0)
	v_cmp_lt_u64_e64 s[0:1], s[10:11], 2
	v_mov_b32_e32 v1, 0
	v_mov_b32_e32 v6, v3
	s_and_b64 vcc, exec, s[0:1]
	v_mov_b32_e32 v2, 0
	s_cbranch_vccnz .LBB0_8
; %bb.1:
	s_load_dwordx2 s[0:1], s[4:5], 0x10
	s_add_u32 s6, s12, 8
	s_addc_u32 s7, s13, 0
	v_mov_b32_e32 v1, 0
	v_mov_b32_e32 v2, 0
	s_waitcnt lgkmcnt(0)
	s_add_u32 s14, s0, 8
	s_addc_u32 s15, s1, 0
	s_mov_b64 s[16:17], 1
.LBB0_2:                                ; =>This Inner Loop Header: Depth=1
	s_load_dwordx2 s[18:19], s[14:15], 0x0
                                        ; implicit-def: $vgpr7_vgpr8
	s_waitcnt lgkmcnt(0)
	v_or_b32_e32 v4, s19, v6
	v_cmp_ne_u64_e32 vcc, 0, v[3:4]
	s_and_saveexec_b64 s[0:1], vcc
	s_xor_b64 s[20:21], exec, s[0:1]
	s_cbranch_execz .LBB0_4
; %bb.3:                                ;   in Loop: Header=BB0_2 Depth=1
	v_cvt_f32_u32_e32 v4, s18
	v_cvt_f32_u32_e32 v7, s19
	s_sub_u32 s0, 0, s18
	s_subb_u32 s1, 0, s19
	v_mac_f32_e32 v4, 0x4f800000, v7
	v_rcp_f32_e32 v4, v4
	v_mul_f32_e32 v4, 0x5f7ffffc, v4
	v_mul_f32_e32 v7, 0x2f800000, v4
	v_trunc_f32_e32 v7, v7
	v_mac_f32_e32 v4, 0xcf800000, v7
	v_cvt_u32_f32_e32 v7, v7
	v_cvt_u32_f32_e32 v4, v4
	v_mul_lo_u32 v8, s0, v7
	v_mul_hi_u32 v9, s0, v4
	v_mul_lo_u32 v11, s1, v4
	v_mul_lo_u32 v10, s0, v4
	v_add_u32_e32 v8, v9, v8
	v_add_u32_e32 v8, v8, v11
	v_mul_hi_u32 v9, v4, v10
	v_mul_lo_u32 v11, v4, v8
	v_mul_hi_u32 v13, v4, v8
	v_mul_hi_u32 v12, v7, v10
	v_mul_lo_u32 v10, v7, v10
	v_mul_hi_u32 v14, v7, v8
	v_add_co_u32_e32 v9, vcc, v9, v11
	v_addc_co_u32_e32 v11, vcc, 0, v13, vcc
	v_mul_lo_u32 v8, v7, v8
	v_add_co_u32_e32 v9, vcc, v9, v10
	v_addc_co_u32_e32 v9, vcc, v11, v12, vcc
	v_addc_co_u32_e32 v10, vcc, 0, v14, vcc
	v_add_co_u32_e32 v8, vcc, v9, v8
	v_addc_co_u32_e32 v9, vcc, 0, v10, vcc
	v_add_co_u32_e32 v4, vcc, v4, v8
	v_addc_co_u32_e32 v7, vcc, v7, v9, vcc
	v_mul_lo_u32 v8, s0, v7
	v_mul_hi_u32 v9, s0, v4
	v_mul_lo_u32 v10, s1, v4
	v_mul_lo_u32 v11, s0, v4
	v_add_u32_e32 v8, v9, v8
	v_add_u32_e32 v8, v8, v10
	v_mul_lo_u32 v12, v4, v8
	v_mul_hi_u32 v13, v4, v11
	v_mul_hi_u32 v14, v4, v8
	;; [unrolled: 1-line block ×3, first 2 shown]
	v_mul_lo_u32 v11, v7, v11
	v_mul_hi_u32 v9, v7, v8
	v_add_co_u32_e32 v12, vcc, v13, v12
	v_addc_co_u32_e32 v13, vcc, 0, v14, vcc
	v_mul_lo_u32 v8, v7, v8
	v_add_co_u32_e32 v11, vcc, v12, v11
	v_addc_co_u32_e32 v10, vcc, v13, v10, vcc
	v_addc_co_u32_e32 v9, vcc, 0, v9, vcc
	v_add_co_u32_e32 v8, vcc, v10, v8
	v_addc_co_u32_e32 v9, vcc, 0, v9, vcc
	v_add_co_u32_e32 v4, vcc, v4, v8
	v_addc_co_u32_e32 v9, vcc, v7, v9, vcc
	v_mad_u64_u32 v[7:8], s[0:1], v5, v9, 0
	v_mul_hi_u32 v10, v5, v4
	v_add_co_u32_e32 v11, vcc, v10, v7
	v_addc_co_u32_e32 v12, vcc, 0, v8, vcc
	v_mad_u64_u32 v[7:8], s[0:1], v6, v4, 0
	v_mad_u64_u32 v[9:10], s[0:1], v6, v9, 0
	v_add_co_u32_e32 v4, vcc, v11, v7
	v_addc_co_u32_e32 v4, vcc, v12, v8, vcc
	v_addc_co_u32_e32 v7, vcc, 0, v10, vcc
	v_add_co_u32_e32 v4, vcc, v4, v9
	v_addc_co_u32_e32 v9, vcc, 0, v7, vcc
	v_mul_lo_u32 v10, s19, v4
	v_mul_lo_u32 v11, s18, v9
	v_mad_u64_u32 v[7:8], s[0:1], s18, v4, 0
	v_add3_u32 v8, v8, v11, v10
	v_sub_u32_e32 v10, v6, v8
	v_mov_b32_e32 v11, s19
	v_sub_co_u32_e32 v7, vcc, v5, v7
	v_subb_co_u32_e64 v10, s[0:1], v10, v11, vcc
	v_subrev_co_u32_e64 v11, s[0:1], s18, v7
	v_subbrev_co_u32_e64 v10, s[0:1], 0, v10, s[0:1]
	v_cmp_le_u32_e64 s[0:1], s19, v10
	v_cndmask_b32_e64 v12, 0, -1, s[0:1]
	v_cmp_le_u32_e64 s[0:1], s18, v11
	v_cndmask_b32_e64 v11, 0, -1, s[0:1]
	v_cmp_eq_u32_e64 s[0:1], s19, v10
	v_cndmask_b32_e64 v10, v12, v11, s[0:1]
	v_add_co_u32_e64 v11, s[0:1], 2, v4
	v_addc_co_u32_e64 v12, s[0:1], 0, v9, s[0:1]
	v_add_co_u32_e64 v13, s[0:1], 1, v4
	v_addc_co_u32_e64 v14, s[0:1], 0, v9, s[0:1]
	v_subb_co_u32_e32 v8, vcc, v6, v8, vcc
	v_cmp_ne_u32_e64 s[0:1], 0, v10
	v_cmp_le_u32_e32 vcc, s19, v8
	v_cndmask_b32_e64 v10, v14, v12, s[0:1]
	v_cndmask_b32_e64 v12, 0, -1, vcc
	v_cmp_le_u32_e32 vcc, s18, v7
	v_cndmask_b32_e64 v7, 0, -1, vcc
	v_cmp_eq_u32_e32 vcc, s19, v8
	v_cndmask_b32_e32 v7, v12, v7, vcc
	v_cmp_ne_u32_e32 vcc, 0, v7
	v_cndmask_b32_e64 v7, v13, v11, s[0:1]
	v_cndmask_b32_e32 v8, v9, v10, vcc
	v_cndmask_b32_e32 v7, v4, v7, vcc
.LBB0_4:                                ;   in Loop: Header=BB0_2 Depth=1
	s_andn2_saveexec_b64 s[0:1], s[20:21]
	s_cbranch_execz .LBB0_6
; %bb.5:                                ;   in Loop: Header=BB0_2 Depth=1
	v_cvt_f32_u32_e32 v4, s18
	s_sub_i32 s20, 0, s18
	v_rcp_iflag_f32_e32 v4, v4
	v_mul_f32_e32 v4, 0x4f7ffffe, v4
	v_cvt_u32_f32_e32 v4, v4
	v_mul_lo_u32 v7, s20, v4
	v_mul_hi_u32 v7, v4, v7
	v_add_u32_e32 v4, v4, v7
	v_mul_hi_u32 v4, v5, v4
	v_mul_lo_u32 v7, v4, s18
	v_add_u32_e32 v8, 1, v4
	v_sub_u32_e32 v7, v5, v7
	v_subrev_u32_e32 v9, s18, v7
	v_cmp_le_u32_e32 vcc, s18, v7
	v_cndmask_b32_e32 v7, v7, v9, vcc
	v_cndmask_b32_e32 v4, v4, v8, vcc
	v_add_u32_e32 v8, 1, v4
	v_cmp_le_u32_e32 vcc, s18, v7
	v_cndmask_b32_e32 v7, v4, v8, vcc
	v_mov_b32_e32 v8, v3
.LBB0_6:                                ;   in Loop: Header=BB0_2 Depth=1
	s_or_b64 exec, exec, s[0:1]
	v_mul_lo_u32 v4, v8, s18
	v_mul_lo_u32 v11, v7, s19
	v_mad_u64_u32 v[9:10], s[0:1], v7, s18, 0
	s_load_dwordx2 s[0:1], s[6:7], 0x0
	s_add_u32 s16, s16, 1
	v_add3_u32 v4, v10, v11, v4
	v_sub_co_u32_e32 v5, vcc, v5, v9
	v_subb_co_u32_e32 v4, vcc, v6, v4, vcc
	s_waitcnt lgkmcnt(0)
	v_mul_lo_u32 v4, s0, v4
	v_mul_lo_u32 v6, s1, v5
	v_mad_u64_u32 v[1:2], s[0:1], s0, v5, v[1:2]
	s_addc_u32 s17, s17, 0
	s_add_u32 s6, s6, 8
	v_add3_u32 v2, v6, v2, v4
	v_mov_b32_e32 v4, s10
	v_mov_b32_e32 v5, s11
	s_addc_u32 s7, s7, 0
	v_cmp_ge_u64_e32 vcc, s[16:17], v[4:5]
	s_add_u32 s14, s14, 8
	s_addc_u32 s15, s15, 0
	s_cbranch_vccnz .LBB0_9
; %bb.7:                                ;   in Loop: Header=BB0_2 Depth=1
	v_mov_b32_e32 v5, v7
	v_mov_b32_e32 v6, v8
	s_branch .LBB0_2
.LBB0_8:
	v_mov_b32_e32 v8, v6
	v_mov_b32_e32 v7, v5
.LBB0_9:
	s_lshl_b64 s[0:1], s[10:11], 3
	s_add_u32 s0, s12, s0
	s_addc_u32 s1, s13, s1
	s_load_dwordx2 s[6:7], s[0:1], 0x0
	s_load_dwordx2 s[10:11], s[4:5], 0x20
                                        ; implicit-def: $vgpr18_vgpr19
                                        ; implicit-def: $vgpr26_vgpr27
                                        ; implicit-def: $vgpr14_vgpr15
                                        ; implicit-def: $vgpr30_vgpr31
                                        ; implicit-def: $vgpr22_vgpr23
                                        ; implicit-def: $vgpr38_vgpr39
                                        ; implicit-def: $vgpr10_vgpr11
                                        ; implicit-def: $vgpr34_vgpr35
                                        ; implicit-def: $vgpr106_vgpr107
                                        ; implicit-def: $vgpr70_vgpr71
                                        ; implicit-def: $vgpr98_vgpr99
                                        ; implicit-def: $vgpr114_vgpr115
                                        ; implicit-def: $vgpr110_vgpr111
                                        ; implicit-def: $vgpr118_vgpr119
                                        ; implicit-def: $vgpr102_vgpr103
                                        ; implicit-def: $vgpr54_vgpr55
                                        ; implicit-def: $vgpr94_vgpr95
                                        ; implicit-def: $vgpr42_vgpr43
                                        ; implicit-def: $vgpr78_vgpr79
                                        ; implicit-def: $vgpr50_vgpr51
                                        ; implicit-def: $vgpr66_vgpr67
                                        ; implicit-def: $vgpr86_vgpr87
                                        ; implicit-def: $vgpr82_vgpr83
                                        ; implicit-def: $vgpr90_vgpr91
                                        ; implicit-def: $vgpr74_vgpr75
                                        ; implicit-def: $vgpr58_vgpr59
                                        ; implicit-def: $vgpr62_vgpr63
                                        ; implicit-def: $vgpr46_vgpr47
	s_waitcnt lgkmcnt(0)
	v_mad_u64_u32 v[1:2], s[0:1], s6, v7, v[1:2]
	v_mul_lo_u32 v3, s6, v8
	v_mul_lo_u32 v4, s7, v7
	s_mov_b32 s0, 0x28f5c29
	v_mul_hi_u32 v5, v0, s0
	v_cmp_gt_u64_e64 s[0:1], s[10:11], v[7:8]
	v_add3_u32 v2, v4, v2, v3
	v_lshlrev_b64 v[136:137], 4, v[1:2]
	v_mul_u32_u24_e32 v3, 0x64, v5
	v_sub_u32_e32 v134, v0, v3
                                        ; implicit-def: $vgpr6_vgpr7
                                        ; implicit-def: $vgpr2_vgpr3
	s_and_saveexec_b64 s[4:5], s[0:1]
	s_cbranch_execz .LBB0_11
; %bb.10:
	v_mov_b32_e32 v135, 0
	v_mov_b32_e32 v0, s3
	v_add_co_u32_e32 v2, vcc, s2, v136
	v_addc_co_u32_e32 v3, vcc, v0, v137, vcc
	v_lshlrev_b64 v[0:1], 4, v[134:135]
	s_movk_i32 s6, 0x1000
	v_add_co_u32_e32 v4, vcc, v2, v0
	v_addc_co_u32_e32 v5, vcc, v3, v1, vcc
	v_add_co_u32_e32 v12, vcc, s6, v4
	v_addc_co_u32_e32 v13, vcc, 0, v5, vcc
	s_movk_i32 s6, 0x2000
	v_add_co_u32_e32 v0, vcc, s6, v4
	v_addc_co_u32_e32 v1, vcc, 0, v5, vcc
	s_movk_i32 s6, 0x3000
	;; [unrolled: 3-line block ×5, first 2 shown]
	v_add_co_u32_e32 v20, vcc, s6, v4
	v_addc_co_u32_e32 v21, vcc, 0, v5, vcc
	s_mov_b32 s6, 0x8000
	v_add_co_u32_e32 v120, vcc, s6, v4
	v_addc_co_u32_e32 v121, vcc, 0, v5, vcc
	s_mov_b32 s6, 0x9000
	;; [unrolled: 3-line block ×3, first 2 shown]
	v_add_co_u32_e32 v122, vcc, s6, v4
	v_addc_co_u32_e32 v123, vcc, 0, v5, vcc
	s_movk_i32 s6, 0x6000
	v_add_co_u32_e32 v124, vcc, s6, v4
	v_addc_co_u32_e32 v125, vcc, 0, v5, vcc
	v_add_co_u32_e32 v126, vcc, 0xb000, v4
	global_load_dwordx4 v[44:47], v[4:5], off
	global_load_dwordx4 v[40:43], v[4:5], off offset:1600
	global_load_dwordx4 v[56:59], v[0:1], off offset:1408
	global_load_dwordx4 v[52:55], v[0:1], off offset:3008
	global_load_dwordx4 v[48:51], v[6:7], off offset:1536
	global_load_dwordx4 v[68:71], v[6:7], off offset:3136
	global_load_dwordx4 v[60:63], v[12:13], off offset:704
	s_nop 0
	global_load_dwordx4 v[0:3], v[4:5], off offset:3200
	v_addc_co_u32_e32 v127, vcc, 0, v5, vcc
	global_load_dwordx4 v[92:95], v[12:13], off offset:2304
	global_load_dwordx4 v[4:7], v[12:13], off offset:3904
	;; [unrolled: 1-line block ×15, first 2 shown]
                                        ; kill: killed $vgpr20 killed $vgpr21
                                        ; kill: killed $vgpr18 killed $vgpr19
                                        ; kill: killed $vgpr16 killed $vgpr17
                                        ; kill: killed $vgpr14 killed $vgpr15
                                        ; kill: killed $vgpr12 killed $vgpr13
	global_load_dwordx4 v[12:15], v[120:121], off offset:4032
	global_load_dwordx4 v[76:79], v[122:123], off offset:2240
	global_load_dwordx4 v[24:27], v[122:123], off offset:640
	global_load_dwordx4 v[104:107], v[122:123], off offset:3840
	global_load_dwordx4 v[108:111], v[124:125], off offset:1024
	global_load_dwordx4 v[20:23], v[124:125], off offset:2624
                                        ; kill: killed $vgpr120 killed $vgpr121
                                        ; kill: killed $vgpr124 killed $vgpr125
                                        ; kill: killed $vgpr122 killed $vgpr123
	global_load_dwordx4 v[16:19], v[126:127], off offset:1344
.LBB0_11:
	s_or_b64 exec, exec, s[4:5]
	s_waitcnt vmcnt(27)
	v_add_f64 v[120:121], v[56:57], v[44:45]
	v_add_f64 v[122:123], v[58:59], v[46:47]
	s_waitcnt vmcnt(11)
	v_add_f64 v[124:125], v[84:85], v[88:89]
	v_add_f64 v[128:129], v[56:57], -v[88:89]
	v_add_f64 v[130:131], v[88:89], -v[56:57]
	;; [unrolled: 1-line block ×4, first 2 shown]
	v_add_f64 v[132:133], v[86:87], v[90:91]
	v_add_f64 v[88:89], v[88:89], v[120:121]
	;; [unrolled: 1-line block ×3, first 2 shown]
	v_add_f64 v[122:123], v[58:59], -v[90:91]
	v_add_f64 v[140:141], v[90:91], -v[58:59]
	;; [unrolled: 1-line block ×3, first 2 shown]
	v_add_f64 v[58:59], v[50:51], v[58:59]
	v_add_f64 v[146:147], v[50:51], -v[86:87]
	v_add_f64 v[148:149], v[86:87], -v[50:51]
	v_add_f64 v[150:151], v[74:75], v[62:63]
	v_add_f64 v[120:121], v[86:87], v[120:121]
	;; [unrolled: 1-line block ×5, first 2 shown]
	v_add_f64 v[56:57], v[56:57], -v[48:49]
	v_add_f64 v[144:145], v[48:49], -v[84:85]
	;; [unrolled: 1-line block ×3, first 2 shown]
	s_mov_b32 s4, 0x134454ff
	v_add_f64 v[120:121], v[50:51], v[120:121]
	v_fma_f64 v[50:51], v[124:125], -0.5, v[44:45]
	v_fma_f64 v[124:125], v[132:133], -0.5, v[46:47]
	;; [unrolled: 1-line block ×3, first 2 shown]
	v_add_f64 v[58:59], v[80:81], v[86:87]
	v_add_f64 v[86:87], v[82:83], v[150:151]
	;; [unrolled: 1-line block ×3, first 2 shown]
	s_waitcnt vmcnt(8)
	v_add_f64 v[88:89], v[64:65], v[80:81]
	s_mov_b32 s5, 0x3fee6f0e
	s_mov_b32 s11, 0xbfee6f0e
	;; [unrolled: 1-line block ×3, first 2 shown]
	v_fma_f64 v[44:45], v[142:143], -0.5, v[44:45]
	v_add_f64 v[58:59], v[64:65], v[58:59]
	v_add_f64 v[86:87], v[66:67], v[86:87]
	v_add_f64 v[142:143], v[72:73], -v[80:81]
	v_add_f64 v[150:151], v[80:81], -v[72:73]
	v_add_f64 v[152:153], v[66:67], v[82:83]
	v_add_f64 v[80:81], v[80:81], -v[64:65]
	s_waitcnt vmcnt(5)
	v_add_f64 v[156:157], v[74:75], -v[78:79]
	v_add_f64 v[158:159], v[76:77], v[72:73]
	v_add_f64 v[72:73], v[72:73], -v[76:77]
	v_add_f64 v[160:161], v[76:77], -v[64:65]
	;; [unrolled: 1-line block ×3, first 2 shown]
	v_add_f64 v[58:59], v[76:77], v[58:59]
	v_add_f64 v[164:165], v[78:79], v[86:87]
	v_fma_f64 v[76:77], v[88:89], -0.5, v[60:61]
	v_fma_f64 v[86:87], v[90:91], s[4:5], v[50:51]
	v_fma_f64 v[50:51], v[90:91], s[10:11], v[50:51]
	s_mov_b32 s6, 0x4755a5e
	s_mov_b32 s7, 0x3fe2cf23
	;; [unrolled: 1-line block ×4, first 2 shown]
	v_add_f64 v[132:133], v[82:83], -v[66:67]
	v_add_f64 v[154:155], v[74:75], -v[82:83]
	;; [unrolled: 1-line block ×3, first 2 shown]
	v_add_f64 v[74:75], v[78:79], v[74:75]
	v_add_f64 v[162:163], v[78:79], -v[66:67]
	v_add_f64 v[66:67], v[66:67], -v[78:79]
	v_fma_f64 v[60:61], v[158:159], -0.5, v[60:61]
	v_fma_f64 v[78:79], v[152:153], -0.5, v[62:63]
	v_fma_f64 v[88:89], v[126:127], s[10:11], v[44:45]
	v_fma_f64 v[44:45], v[126:127], s[4:5], v[44:45]
	;; [unrolled: 1-line block ×5, first 2 shown]
	v_fma_f64 v[62:63], v[74:75], -0.5, v[62:63]
	v_add_f64 v[74:75], v[144:145], v[128:129]
	v_add_f64 v[84:85], v[84:85], v[130:131]
	v_fma_f64 v[88:89], v[90:91], s[6:7], v[88:89]
	v_fma_f64 v[76:77], v[156:157], s[10:11], v[76:77]
	;; [unrolled: 1-line block ×3, first 2 shown]
	v_add_f64 v[90:91], v[160:161], v[142:143]
	v_fma_f64 v[128:129], v[132:133], s[10:11], v[60:61]
	v_fma_f64 v[60:61], v[132:133], s[4:5], v[60:61]
	;; [unrolled: 1-line block ×4, first 2 shown]
	s_mov_b32 s14, 0x372fe950
	s_mov_b32 s15, 0x3fd3c6ef
	v_fma_f64 v[76:77], v[132:133], s[12:13], v[76:77]
	v_fma_f64 v[78:79], v[72:73], s[4:5], v[78:79]
	v_add_f64 v[64:65], v[64:65], v[150:151]
	v_fma_f64 v[132:133], v[80:81], s[4:5], v[62:63]
	v_fma_f64 v[128:129], v[156:157], s[6:7], v[128:129]
	;; [unrolled: 1-line block ×4, first 2 shown]
	v_add_f64 v[142:143], v[162:163], v[154:155]
	v_fma_f64 v[130:131], v[80:81], s[12:13], v[130:131]
	v_fma_f64 v[126:127], v[90:91], s[14:15], v[126:127]
	s_mov_b32 s16, 0x9b97f4a8
	s_mov_b32 s17, 0x3fe9e377
	v_fma_f64 v[78:79], v[80:81], s[6:7], v[78:79]
	v_add_f64 v[66:67], v[66:67], v[82:83]
	v_fma_f64 v[80:81], v[72:73], s[12:13], v[132:133]
	v_fma_f64 v[62:63], v[72:73], s[6:7], v[62:63]
	;; [unrolled: 1-line block ×6, first 2 shown]
	v_mul_f64 v[64:65], v[126:127], s[16:17]
	v_fma_f64 v[142:143], v[142:143], s[14:15], v[78:79]
	v_fma_f64 v[132:133], v[66:67], s[14:15], v[80:81]
	;; [unrolled: 1-line block ×3, first 2 shown]
	v_mul_f64 v[76:77], v[72:73], s[14:15]
	v_mul_f64 v[78:79], v[128:129], s[16:17]
	;; [unrolled: 1-line block ×3, first 2 shown]
	v_fma_f64 v[80:81], v[74:75], s[14:15], v[86:87]
	v_fma_f64 v[82:83], v[130:131], s[6:7], v[64:65]
	;; [unrolled: 1-line block ×6, first 2 shown]
	v_fma_f64 v[74:75], v[142:143], s[6:7], -v[78:79]
	v_fma_f64 v[84:85], v[62:63], s[4:5], -v[66:67]
	v_add_f64 v[64:65], v[58:59], v[48:49]
	v_add_f64 v[66:67], v[80:81], v[82:83]
	v_add_f64 v[76:77], v[80:81], -v[82:83]
	v_add_f64 v[82:83], v[48:49], -v[58:59]
	v_fma_f64 v[48:49], v[56:57], s[10:11], v[124:125]
	v_add_f64 v[78:79], v[86:87], -v[88:89]
	v_add_f64 v[88:89], v[86:87], v[88:89]
	v_add_f64 v[90:91], v[44:45], v[84:85]
	;; [unrolled: 1-line block ×3, first 2 shown]
	v_add_f64 v[84:85], v[44:45], -v[84:85]
	v_fma_f64 v[44:45], v[138:139], s[4:5], v[46:47]
	v_add_f64 v[86:87], v[50:51], -v[74:75]
	v_fma_f64 v[50:51], v[56:57], s[4:5], v[124:125]
	v_add_f64 v[58:59], v[146:147], v[122:123]
	v_fma_f64 v[48:49], v[138:139], s[12:13], v[48:49]
	v_mul_f64 v[122:123], v[126:127], s[12:13]
	v_fma_f64 v[46:47], v[138:139], s[10:11], v[46:47]
	v_add_f64 v[74:75], v[148:149], v[140:141]
	v_fma_f64 v[44:45], v[56:57], s[12:13], v[44:45]
	v_mul_f64 v[72:73], v[72:73], s[10:11]
	v_fma_f64 v[50:51], v[138:139], s[6:7], v[50:51]
	v_add_f64 v[138:139], v[54:55], -v[118:119]
	v_fma_f64 v[124:125], v[58:59], s[14:15], v[48:49]
	v_fma_f64 v[122:123], v[130:131], s[16:17], v[122:123]
	;; [unrolled: 1-line block ×3, first 2 shown]
	v_mul_f64 v[56:57], v[62:63], s[14:15]
	v_mul_f64 v[62:63], v[142:143], s[16:17]
	v_fma_f64 v[126:127], v[74:75], s[14:15], v[44:45]
	v_fma_f64 v[58:59], v[58:59], s[14:15], v[50:51]
	;; [unrolled: 1-line block ×3, first 2 shown]
	v_add_f64 v[48:49], v[164:165], v[120:121]
	v_add_f64 v[50:51], v[124:125], v[122:123]
	v_add_f64 v[44:45], v[124:125], -v[122:123]
	v_add_f64 v[122:123], v[52:53], v[40:41]
	v_fma_f64 v[130:131], v[74:75], s[14:15], v[46:47]
	v_fma_f64 v[56:57], v[60:61], s[10:11], -v[56:57]
	v_fma_f64 v[128:129], v[128:129], s[12:13], -v[62:63]
	v_add_f64 v[124:125], v[54:55], v[42:43]
	v_add_f64 v[62:63], v[120:121], -v[164:165]
	v_add_f64 v[46:47], v[126:127], -v[72:73]
	v_add_f64 v[72:73], v[126:127], v[72:73]
	v_add_f64 v[120:121], v[116:117], v[122:123]
	v_add_f64 v[126:127], v[118:119], -v[114:115]
	v_add_f64 v[74:75], v[130:131], v[56:57]
	v_add_f64 v[60:61], v[58:59], v[128:129]
	v_add_f64 v[56:57], v[130:131], -v[56:57]
	v_add_f64 v[58:59], v[58:59], -v[128:129]
	v_add_f64 v[122:123], v[118:119], v[124:125]
	v_add_f64 v[124:125], v[112:113], v[116:117]
	v_add_f64 v[128:129], v[52:53], -v[116:117]
	v_add_f64 v[130:131], v[116:117], -v[52:53]
	v_add_f64 v[132:133], v[114:115], v[118:119]
	v_add_f64 v[118:119], v[118:119], -v[54:55]
	v_add_f64 v[140:141], v[54:55], -v[70:71]
	v_add_f64 v[142:143], v[68:69], v[52:53]
	v_add_f64 v[144:145], v[52:53], -v[68:69]
	v_add_f64 v[52:53], v[70:71], v[54:55]
	v_add_f64 v[54:55], v[112:113], v[120:121]
	;; [unrolled: 1-line block ×4, first 2 shown]
	v_add_f64 v[116:117], v[116:117], -v[112:113]
	v_add_f64 v[120:121], v[114:115], v[122:123]
	v_add_f64 v[122:123], v[68:69], -v[112:113]
	v_add_f64 v[112:113], v[112:113], -v[68:69]
	s_waitcnt vmcnt(3)
	v_add_f64 v[158:159], v[104:105], v[100:101]
	v_add_f64 v[152:153], v[68:69], v[54:55]
	v_fma_f64 v[54:55], v[124:125], -0.5, v[40:41]
	v_fma_f64 v[124:125], v[132:133], -0.5, v[42:43]
	;; [unrolled: 1-line block ×3, first 2 shown]
	s_waitcnt vmcnt(2)
	v_add_f64 v[42:43], v[108:109], v[148:149]
	v_add_f64 v[52:53], v[110:111], v[150:151]
	;; [unrolled: 1-line block ×3, first 2 shown]
	v_add_f64 v[146:147], v[70:71], -v[114:115]
	v_add_f64 v[114:115], v[114:115], -v[70:71]
	v_add_f64 v[120:121], v[70:71], v[120:121]
	v_fma_f64 v[40:41], v[142:143], -0.5, v[40:41]
	v_add_f64 v[70:71], v[110:111], -v[98:99]
	v_add_f64 v[42:43], v[96:97], v[42:43]
	v_add_f64 v[52:53], v[98:99], v[52:53]
	v_add_f64 v[142:143], v[100:101], -v[108:109]
	v_add_f64 v[148:149], v[108:109], -v[100:101]
	v_add_f64 v[150:151], v[98:99], v[110:111]
	v_add_f64 v[108:109], v[108:109], -v[96:97]
	v_add_f64 v[154:155], v[102:103], -v[110:111]
	;; [unrolled: 1-line block ×5, first 2 shown]
	v_add_f64 v[102:103], v[106:107], v[102:103]
	v_add_f64 v[160:161], v[104:105], -v[96:97]
	v_add_f64 v[96:97], v[96:97], -v[104:105]
	v_add_f64 v[104:105], v[104:105], v[42:43]
	v_add_f64 v[164:165], v[106:107], v[52:53]
	v_fma_f64 v[42:43], v[68:69], -0.5, v[92:93]
	v_fma_f64 v[52:53], v[140:141], s[4:5], v[54:55]
	v_fma_f64 v[54:55], v[140:141], s[10:11], v[54:55]
	v_fma_f64 v[68:69], v[158:159], -0.5, v[92:93]
	v_add_f64 v[162:163], v[106:107], -v[98:99]
	v_add_f64 v[98:99], v[98:99], -v[106:107]
	v_fma_f64 v[92:93], v[150:151], -0.5, v[94:95]
	v_fma_f64 v[94:95], v[102:103], -0.5, v[94:95]
	v_fma_f64 v[102:103], v[126:127], s[10:11], v[40:41]
	v_add_f64 v[106:107], v[122:123], v[128:129]
	v_fma_f64 v[40:41], v[126:127], s[4:5], v[40:41]
	v_fma_f64 v[52:53], v[126:127], s[6:7], v[52:53]
	;; [unrolled: 1-line block ×7, first 2 shown]
	v_add_f64 v[112:113], v[112:113], v[130:131]
	v_add_f64 v[128:129], v[160:161], v[142:143]
	;; [unrolled: 1-line block ×3, first 2 shown]
	v_fma_f64 v[130:131], v[108:109], s[4:5], v[94:95]
	v_fma_f64 v[122:123], v[70:71], s[6:7], v[122:123]
	;; [unrolled: 1-line block ×10, first 2 shown]
	v_add_f64 v[140:141], v[162:163], v[154:155]
	v_fma_f64 v[70:71], v[108:109], s[12:13], v[70:71]
	v_add_f64 v[98:99], v[98:99], v[110:111]
	v_fma_f64 v[110:111], v[128:129], s[14:15], v[122:123]
	v_fma_f64 v[122:123], v[100:101], s[12:13], v[130:131]
	;; [unrolled: 1-line block ×8, first 2 shown]
	v_mul_f64 v[42:43], v[110:111], s[16:17]
	v_fma_f64 v[122:123], v[98:99], s[14:15], v[122:123]
	v_mul_f64 v[70:71], v[126:127], s[14:15]
	v_fma_f64 v[94:95], v[98:99], s[14:15], v[94:95]
	;; [unrolled: 2-line block ×4, first 2 shown]
	v_fma_f64 v[100:101], v[108:109], s[6:7], v[42:43]
	v_fma_f64 v[102:103], v[112:113], s[14:15], v[102:103]
	;; [unrolled: 1-line block ×4, first 2 shown]
	v_fma_f64 v[98:99], v[94:95], s[4:5], -v[98:99]
	v_fma_f64 v[106:107], v[106:107], s[14:15], v[54:55]
	v_fma_f64 v[130:131], v[128:129], s[6:7], -v[68:69]
	v_fma_f64 v[140:141], v[144:145], s[10:11], v[124:125]
	v_add_f64 v[40:41], v[104:105], v[152:153]
	v_add_f64 v[42:43], v[52:53], v[100:101]
	v_add_f64 v[52:53], v[52:53], -v[100:101]
	v_add_f64 v[54:55], v[102:103], -v[70:71]
	v_add_f64 v[68:69], v[102:103], v[70:71]
	v_add_f64 v[70:71], v[112:113], v[98:99]
	v_add_f64 v[102:103], v[152:153], -v[104:105]
	v_add_f64 v[100:101], v[106:107], v[130:131]
	v_add_f64 v[104:105], v[112:113], -v[98:99]
	v_fma_f64 v[98:99], v[116:117], s[4:5], v[132:133]
	v_add_f64 v[106:107], v[106:107], -v[130:131]
	v_fma_f64 v[112:113], v[144:145], s[4:5], v[124:125]
	v_fma_f64 v[124:125], v[116:117], s[10:11], v[132:133]
	v_add_f64 v[130:131], v[146:147], v[138:139]
	v_fma_f64 v[132:133], v[116:117], s[12:13], v[140:141]
	v_mul_f64 v[110:111], v[110:111], s[12:13]
	v_add_f64 v[114:115], v[114:115], v[118:119]
	v_fma_f64 v[98:99], v[144:145], s[12:13], v[98:99]
	v_mul_f64 v[118:119], v[126:127], s[10:11]
	v_fma_f64 v[112:113], v[116:117], s[6:7], v[112:113]
	v_fma_f64 v[116:117], v[144:145], s[6:7], v[124:125]
	v_mul_f64 v[124:125], v[128:129], s[16:17]
	v_fma_f64 v[126:127], v[130:131], s[14:15], v[132:133]
	;; [unrolled: 3-line block ×3, first 2 shown]
	v_fma_f64 v[118:119], v[122:123], s[14:15], v[118:119]
	v_fma_f64 v[122:123], v[130:131], s[14:15], v[112:113]
	v_add_f64 v[130:131], v[34:35], v[2:3]
	v_fma_f64 v[124:125], v[92:93], s[12:13], -v[124:125]
	v_fma_f64 v[116:117], v[114:115], s[14:15], v[116:117]
	v_add_f64 v[98:99], v[126:127], v[108:109]
	v_add_f64 v[92:93], v[126:127], -v[108:109]
	v_add_f64 v[126:127], v[32:33], v[0:1]
	v_fma_f64 v[128:129], v[96:97], s[10:11], -v[94:95]
	v_add_f64 v[96:97], v[164:165], v[120:121]
	v_add_f64 v[94:95], v[110:111], -v[118:119]
	v_add_f64 v[108:109], v[110:111], v[118:119]
	v_add_f64 v[114:115], v[120:121], -v[164:165]
	;; [unrolled: 2-line block ×3, first 2 shown]
	v_add_f64 v[120:121], v[36:37], v[126:127]
	v_add_f64 v[122:123], v[38:39], v[130:131]
	;; [unrolled: 1-line block ×3, first 2 shown]
	v_add_f64 v[126:127], v[38:39], -v[30:31]
	v_add_f64 v[132:133], v[30:31], v[38:39]
	v_add_f64 v[138:139], v[34:35], -v[38:39]
	v_add_f64 v[38:39], v[38:39], -v[34:35]
	;; [unrolled: 1-line block ×3, first 2 shown]
	v_add_f64 v[34:35], v[26:27], v[34:35]
	v_add_f64 v[120:121], v[28:29], v[120:121]
	;; [unrolled: 1-line block ×6, first 2 shown]
	v_add_f64 v[116:117], v[116:117], -v[128:129]
	v_add_f64 v[128:129], v[32:33], -v[36:37]
	;; [unrolled: 1-line block ×4, first 2 shown]
	v_add_f64 v[142:143], v[24:25], v[32:33]
	v_add_f64 v[32:33], v[32:33], -v[24:25]
	v_add_f64 v[144:145], v[24:25], -v[28:29]
	;; [unrolled: 1-line block ×5, first 2 shown]
	v_add_f64 v[24:25], v[24:25], v[120:121]
	v_add_f64 v[26:27], v[26:27], v[122:123]
	v_fma_f64 v[120:121], v[124:125], -0.5, v[0:1]
	v_fma_f64 v[122:123], v[132:133], -0.5, v[2:3]
	;; [unrolled: 1-line block ×3, first 2 shown]
	s_waitcnt vmcnt(1)
	v_add_f64 v[2:3], v[20:21], v[148:149]
	v_add_f64 v[124:125], v[22:23], v[150:151]
	;; [unrolled: 1-line block ×3, first 2 shown]
	s_waitcnt vmcnt(0)
	v_add_f64 v[158:159], v[16:17], v[8:9]
	v_fma_f64 v[0:1], v[142:143], -0.5, v[0:1]
	v_add_f64 v[142:143], v[22:23], -v[14:15]
	v_add_f64 v[148:149], v[8:9], -v[20:21]
	;; [unrolled: 1-line block ×3, first 2 shown]
	v_add_f64 v[2:3], v[12:13], v[2:3]
	v_add_f64 v[124:125], v[14:15], v[124:125]
	;; [unrolled: 1-line block ×3, first 2 shown]
	v_add_f64 v[20:21], v[20:21], -v[12:13]
	v_add_f64 v[154:155], v[10:11], -v[22:23]
	;; [unrolled: 1-line block ×5, first 2 shown]
	v_add_f64 v[10:11], v[18:19], v[10:11]
	v_add_f64 v[160:161], v[16:17], -v[12:13]
	v_add_f64 v[12:13], v[12:13], -v[16:17]
	;; [unrolled: 1-line block ×4, first 2 shown]
	v_add_f64 v[16:17], v[16:17], v[2:3]
	v_add_f64 v[164:165], v[18:19], v[124:125]
	v_fma_f64 v[2:3], v[132:133], -0.5, v[4:5]
	v_fma_f64 v[18:19], v[140:141], s[4:5], v[120:121]
	v_fma_f64 v[120:121], v[140:141], s[10:11], v[120:121]
	v_fma_f64 v[4:5], v[158:159], -0.5, v[4:5]
	v_fma_f64 v[124:125], v[152:153], -0.5, v[6:7]
	;; [unrolled: 1-line block ×3, first 2 shown]
	v_fma_f64 v[10:11], v[126:127], s[10:11], v[0:1]
	v_fma_f64 v[0:1], v[126:127], s[4:5], v[0:1]
	v_add_f64 v[28:29], v[28:29], v[130:131]
	v_fma_f64 v[18:19], v[126:127], s[6:7], v[18:19]
	v_fma_f64 v[120:121], v[126:127], s[12:13], v[120:121]
	;; [unrolled: 1-line block ×8, first 2 shown]
	v_add_f64 v[132:133], v[160:161], v[148:149]
	v_fma_f64 v[140:141], v[8:9], s[10:11], v[124:125]
	v_fma_f64 v[126:127], v[142:143], s[6:7], v[126:127]
	;; [unrolled: 1-line block ×3, first 2 shown]
	v_add_f64 v[12:13], v[12:13], v[150:151]
	v_fma_f64 v[130:131], v[156:157], s[6:7], v[130:131]
	v_fma_f64 v[142:143], v[20:21], s[4:5], v[6:7]
	;; [unrolled: 1-line block ×4, first 2 shown]
	v_add_f64 v[128:129], v[144:145], v[128:129]
	v_add_f64 v[144:145], v[162:163], v[154:155]
	v_fma_f64 v[124:125], v[8:9], s[4:5], v[124:125]
	v_fma_f64 v[140:141], v[20:21], s[12:13], v[140:141]
	v_add_f64 v[14:15], v[14:15], v[22:23]
	v_fma_f64 v[22:23], v[132:133], s[14:15], v[126:127]
	v_fma_f64 v[126:127], v[8:9], s[12:13], v[142:143]
	;; [unrolled: 1-line block ×8, first 2 shown]
	v_mul_f64 v[2:3], v[22:23], s[16:17]
	v_fma_f64 v[126:127], v[14:15], s[14:15], v[126:127]
	v_mul_f64 v[8:9], v[130:131], s[14:15]
	v_fma_f64 v[132:133], v[14:15], s[14:15], v[6:7]
	;; [unrolled: 2-line block ×4, first 2 shown]
	v_fma_f64 v[14:15], v[124:125], s[6:7], v[2:3]
	v_fma_f64 v[10:11], v[28:29], s[14:15], v[10:11]
	;; [unrolled: 1-line block ×4, first 2 shown]
	v_fma_f64 v[28:29], v[132:133], s[4:5], -v[6:7]
	v_fma_f64 v[120:121], v[128:129], s[14:15], v[120:121]
	v_fma_f64 v[128:129], v[140:141], s[6:7], -v[4:5]
	v_add_f64 v[0:1], v[16:17], v[24:25]
	v_add_f64 v[2:3], v[12:13], v[14:15]
	v_add_f64 v[4:5], v[12:13], -v[14:15]
	v_add_f64 v[6:7], v[10:11], -v[8:9]
	v_add_f64 v[8:9], v[10:11], v[8:9]
	v_add_f64 v[10:11], v[18:19], v[28:29]
	v_add_f64 v[14:15], v[24:25], -v[16:17]
	v_fma_f64 v[24:25], v[32:33], s[10:11], v[122:123]
	v_add_f64 v[16:17], v[18:19], -v[28:29]
	v_fma_f64 v[28:29], v[36:37], s[4:5], v[34:35]
	v_fma_f64 v[34:35], v[36:37], s[10:11], v[34:35]
	;; [unrolled: 1-line block ×3, first 2 shown]
	v_add_f64 v[12:13], v[120:121], v[128:129]
	v_add_f64 v[18:19], v[120:121], -v[128:129]
	v_add_f64 v[120:121], v[146:147], v[138:139]
	v_fma_f64 v[24:25], v[36:37], s[12:13], v[24:25]
	v_add_f64 v[30:31], v[30:31], v[38:39]
	v_fma_f64 v[28:29], v[32:33], s[12:13], v[28:29]
	v_fma_f64 v[32:33], v[32:33], s[6:7], v[34:35]
	v_mul_f64 v[34:35], v[132:133], s[14:15]
	v_fma_f64 v[36:37], v[36:37], s[6:7], v[122:123]
	v_mul_f64 v[122:123], v[140:141], s[16:17]
	v_mul_f64 v[22:23], v[22:23], s[12:13]
	;; [unrolled: 1-line block ×3, first 2 shown]
	v_fma_f64 v[24:25], v[120:121], s[14:15], v[24:25]
	v_fma_f64 v[28:29], v[30:31], s[14:15], v[28:29]
	;; [unrolled: 1-line block ×3, first 2 shown]
	v_fma_f64 v[32:33], v[142:143], s[10:11], -v[34:35]
	v_fma_f64 v[34:35], v[120:121], s[14:15], v[36:37]
	v_fma_f64 v[20:21], v[20:21], s[12:13], -v[122:123]
	v_fma_f64 v[22:23], v[124:125], s[16:17], v[22:23]
	v_fma_f64 v[38:39], v[126:127], s[14:15], v[38:39]
	s_movk_i32 s18, 0xffb8
	v_add_f64 v[120:121], v[164:165], v[26:27]
	v_add_f64 v[140:141], v[26:27], -v[164:165]
	v_add_f64 v[130:131], v[30:31], v[32:33]
	v_add_f64 v[142:143], v[30:31], -v[32:33]
	;; [unrolled: 2-line block ×3, first 2 shown]
	v_mul_u32_u24_e32 v20, 10, v134
	v_lshl_add_u32 v132, v20, 3, 0
	v_mad_i32_i24 v135, v134, s18, v132
	v_add_u32_e32 v153, 0x1c00, v135
	v_add_u32_e32 v154, 0x3c00, v135
	;; [unrolled: 1-line block ×10, first 2 shown]
	s_movk_i32 s18, 0xcd
	v_add_f64 v[122:123], v[24:25], v[22:23]
	v_add_f64 v[124:125], v[24:25], -v[22:23]
	v_add_f64 v[126:127], v[28:29], -v[38:39]
	v_add_f64 v[128:129], v[28:29], v[38:39]
	ds_write_b128 v132, v[64:67]
	ds_write_b128 v132, v[88:91] offset:16
	ds_write_b128 v132, v[80:83] offset:32
	;; [unrolled: 1-line block ×14, first 2 shown]
	s_waitcnt lgkmcnt(0)
	s_barrier
	ds_read2_b64 v[16:19], v135 offset1:100
	ds_read2_b64 v[76:79], v153 offset0:104 offset1:204
	ds_read2_b64 v[68:71], v154 offset0:80 offset1:180
	;; [unrolled: 1-line block ×9, first 2 shown]
	v_add_u32_e32 v159, 0x5000, v135
	v_add_u32_e32 v160, 0x1800, v135
	;; [unrolled: 1-line block ×4, first 2 shown]
	ds_read2_b64 v[40:43], v157 offset0:64 offset1:164
	ds_read2_b64 v[32:35], v159 offset0:40 offset1:140
	;; [unrolled: 1-line block ×5, first 2 shown]
	s_waitcnt lgkmcnt(0)
	s_barrier
	ds_write_b128 v132, v[48:51]
	ds_write_b128 v132, v[72:75] offset:16
	ds_write_b128 v132, v[60:63] offset:32
	;; [unrolled: 1-line block ×14, first 2 shown]
	v_mul_lo_u16_sdwa v44, v134, s18 dst_sel:DWORD dst_unused:UNUSED_PAD src0_sel:BYTE_0 src1_sel:DWORD
	v_lshrrev_b16_e32 v57, 11, v44
	v_mul_lo_u16_e32 v44, 10, v57
	v_sub_u16_e32 v50, v134, v44
	v_mov_b32_e32 v44, 5
	v_lshlrev_b32_sdwa v45, v44, v50 dst_sel:DWORD dst_unused:UNUSED_PAD src0_sel:DWORD src1_sel:BYTE_0
	s_waitcnt lgkmcnt(0)
	s_barrier
	global_load_dwordx4 v[60:63], v45, s[8:9]
	v_add_u16_e32 v106, 0x64, v134
	v_mul_lo_u16_sdwa v46, v106, s18 dst_sel:DWORD dst_unused:UNUSED_PAD src0_sel:BYTE_0 src1_sel:DWORD
	v_lshrrev_b16_e32 v46, 11, v46
	v_mul_lo_u16_e32 v47, 10, v46
	v_sub_u16_e32 v47, v106, v47
	v_lshlrev_b32_sdwa v44, v44, v47 dst_sel:DWORD dst_unused:UNUSED_PAD src0_sel:DWORD src1_sel:BYTE_0
	global_load_dwordx4 v[72:75], v44, s[8:9]
	global_load_dwordx4 v[80:83], v45, s[8:9] offset:16
	global_load_dwordx4 v[84:87], v44, s[8:9] offset:16
	v_add_u32_e32 v146, 0xc8, v134
	s_mov_b32 s18, 0xcccd
	v_mul_u32_u24_sdwa v44, v146, s18 dst_sel:DWORD dst_unused:UNUSED_PAD src0_sel:WORD_0 src1_sel:DWORD
	v_lshrrev_b32_e32 v48, 19, v44
	v_mul_lo_u16_e32 v44, 10, v48
	v_sub_u16_e32 v49, v146, v44
	v_lshlrev_b32_e32 v44, 5, v49
	global_load_dwordx4 v[88:91], v44, s[8:9]
	v_add_u32_e32 v45, 0x12c, v134
	v_mul_u32_u24_sdwa v51, v45, s18 dst_sel:DWORD dst_unused:UNUSED_PAD src0_sel:WORD_0 src1_sel:DWORD
	v_lshrrev_b32_e32 v51, 19, v51
	v_mul_lo_u16_e32 v56, 10, v51
	v_sub_u16_e32 v56, v45, v56
	v_lshlrev_b32_e32 v45, 5, v56
	global_load_dwordx4 v[96:99], v45, s[8:9]
	global_load_dwordx4 v[117:120], v44, s[8:9] offset:16
	global_load_dwordx4 v[121:124], v45, s[8:9] offset:16
	v_add_u32_e32 v44, 0x190, v134
	v_mul_u32_u24_sdwa v45, v44, s18 dst_sel:DWORD dst_unused:UNUSED_PAD src0_sel:WORD_0 src1_sel:DWORD
	v_lshrrev_b32_e32 v107, 19, v45
	v_mul_lo_u16_e32 v45, 10, v107
	v_sub_u16_e32 v108, v44, v45
	v_add_u32_e32 v45, 0x1f4, v134
	v_mul_u32_u24_sdwa v58, v45, s18 dst_sel:DWORD dst_unused:UNUSED_PAD src0_sel:WORD_0 src1_sel:DWORD
	v_lshrrev_b32_e32 v58, 19, v58
	v_lshlrev_b32_e32 v44, 5, v108
	v_mul_lo_u16_e32 v59, 10, v58
	global_load_dwordx4 v[125:128], v44, s[8:9]
	v_sub_u16_e32 v59, v45, v59
	v_lshlrev_b32_e32 v45, 5, v59
	global_load_dwordx4 v[129:132], v45, s[8:9]
	global_load_dwordx4 v[138:141], v44, s[8:9] offset:16
	global_load_dwordx4 v[142:145], v45, s[8:9] offset:16
	v_add_u32_e32 v44, 0x258, v134
	v_mul_u32_u24_sdwa v45, v44, s18 dst_sel:DWORD dst_unused:UNUSED_PAD src0_sel:WORD_0 src1_sel:DWORD
	v_lshrrev_b32_e32 v111, 19, v45
	v_mul_lo_u16_e32 v45, 10, v111
	v_sub_u16_e32 v112, v44, v45
	v_add_u32_e32 v45, 0x2bc, v134
	v_mul_u32_u24_sdwa v92, v45, s18 dst_sel:DWORD dst_unused:UNUSED_PAD src0_sel:WORD_0 src1_sel:DWORD
	v_lshrrev_b32_e32 v110, 19, v92
	v_mul_lo_u16_e32 v92, 10, v110
	v_sub_u16_e32 v109, v45, v92
	v_lshlrev_b32_e32 v44, 5, v112
	v_lshlrev_b32_e32 v45, 5, v109
	global_load_dwordx4 v[161:164], v44, s[8:9]
	global_load_dwordx4 v[165:168], v45, s[8:9]
	ds_read2_b64 v[92:95], v153 offset0:104 offset1:204
	global_load_dwordx4 v[169:172], v44, s[8:9] offset:16
	global_load_dwordx4 v[173:176], v45, s[8:9] offset:16
	v_add_u32_e32 v44, 0x320, v134
	v_mul_u32_u24_sdwa v45, v44, s18 dst_sel:DWORD dst_unused:UNUSED_PAD src0_sel:WORD_0 src1_sel:DWORD
	v_lshrrev_b32_e32 v114, 19, v45
	v_mul_lo_u16_e32 v45, 10, v114
	v_sub_u16_e32 v113, v44, v45
	v_add_u32_e32 v44, 0x384, v134
	v_mul_u32_u24_sdwa v45, v44, s18 dst_sel:DWORD dst_unused:UNUSED_PAD src0_sel:WORD_0 src1_sel:DWORD
	v_lshrrev_b32_e32 v115, 19, v45
	v_mul_lo_u16_e32 v45, 10, v115
	v_sub_u16_e32 v116, v44, v45
	v_lshlrev_b32_e32 v100, 5, v113
	v_lshlrev_b32_e32 v101, 5, v116
	global_load_dwordx4 v[177:180], v100, s[8:9]
	global_load_dwordx4 v[181:184], v101, s[8:9]
	global_load_dwordx4 v[185:188], v100, s[8:9] offset:16
	global_load_dwordx4 v[189:192], v101, s[8:9] offset:16
	ds_read2_b64 v[100:103], v154 offset0:80 offset1:180
	s_mov_b32 s18, 0xe8584caa
	s_mov_b32 s19, 0x3febb67a
	;; [unrolled: 1-line block ×4, first 2 shown]
	v_mul_u32_u24_e32 v46, 0xf0, v46
	s_waitcnt vmcnt(19) lgkmcnt(1)
	v_mul_f64 v[44:45], v[92:93], v[62:63]
	v_mul_f64 v[62:63], v[76:77], v[62:63]
	s_waitcnt vmcnt(18)
	v_mul_f64 v[104:105], v[94:95], v[74:75]
	v_mul_f64 v[74:75], v[78:79], v[74:75]
	s_waitcnt vmcnt(16) lgkmcnt(0)
	v_mul_f64 v[195:196], v[102:103], v[86:87]
	v_fma_f64 v[44:45], v[76:77], v[60:61], -v[44:45]
	v_fma_f64 v[193:194], v[92:93], v[60:61], v[62:63]
	v_mul_f64 v[76:77], v[100:101], v[82:83]
	ds_read2_b64 v[60:63], v147 offset0:48 offset1:148
	v_mul_f64 v[82:83], v[68:69], v[82:83]
	v_mul_f64 v[86:87], v[70:71], v[86:87]
	v_fma_f64 v[92:93], v[78:79], v[72:73], -v[104:105]
	v_fma_f64 v[197:198], v[94:95], v[72:73], v[74:75]
	s_waitcnt vmcnt(15) lgkmcnt(0)
	v_mul_f64 v[78:79], v[60:61], v[90:91]
	v_mul_f64 v[72:73], v[64:65], v[90:91]
	v_fma_f64 v[199:200], v[68:69], v[80:81], -v[76:77]
	v_fma_f64 v[201:202], v[100:101], v[80:81], v[82:83]
	v_fma_f64 v[100:101], v[70:71], v[84:85], -v[195:196]
	ds_read2_b64 v[68:71], v152 offset0:152 offset1:252
	v_fma_f64 v[94:95], v[102:103], v[84:85], v[86:87]
	v_fma_f64 v[86:87], v[64:65], v[88:89], -v[78:79]
	s_waitcnt vmcnt(14)
	v_mul_f64 v[64:65], v[62:63], v[98:99]
	v_mul_f64 v[76:77], v[66:67], v[98:99]
	v_fma_f64 v[195:196], v[60:61], v[88:89], v[72:73]
	s_waitcnt vmcnt(13) lgkmcnt(0)
	v_mul_f64 v[60:61], v[68:69], v[119:120]
	ds_read2_b64 v[72:75], v156 offset0:120 offset1:220
	s_waitcnt vmcnt(12)
	v_mul_f64 v[80:81], v[70:71], v[123:124]
	v_mul_f64 v[78:79], v[52:53], v[119:120]
	;; [unrolled: 1-line block ×3, first 2 shown]
	v_fma_f64 v[88:89], v[66:67], v[96:97], -v[64:65]
	v_fma_f64 v[119:120], v[62:63], v[96:97], v[76:77]
	s_waitcnt vmcnt(11) lgkmcnt(0)
	v_mul_f64 v[62:63], v[72:73], v[127:128]
	v_fma_f64 v[102:103], v[52:53], v[117:118], -v[60:61]
	v_mul_f64 v[60:61], v[36:37], v[127:128]
	s_waitcnt vmcnt(10)
	v_mul_f64 v[64:65], v[74:75], v[131:132]
	v_fma_f64 v[96:97], v[54:55], v[121:122], -v[80:81]
	ds_read2_b64 v[52:55], v148 offset0:96 offset1:196
	v_fma_f64 v[82:83], v[68:69], v[117:118], v[78:79]
	s_waitcnt vmcnt(9)
	v_mul_f64 v[66:67], v[28:29], v[140:141]
	v_fma_f64 v[90:91], v[36:37], v[125:126], -v[62:63]
	v_mul_f64 v[36:37], v[38:39], v[131:132]
	v_fma_f64 v[117:118], v[72:73], v[125:126], v[60:61]
	s_waitcnt lgkmcnt(0)
	v_mul_f64 v[62:63], v[52:53], v[140:141]
	v_fma_f64 v[60:61], v[38:39], v[129:130], -v[64:65]
	s_waitcnt vmcnt(8)
	v_mul_f64 v[38:39], v[30:31], v[144:145]
	v_fma_f64 v[80:81], v[70:71], v[121:122], v[84:85]
	ds_read2_b64 v[68:71], v157 offset0:64 offset1:164
	v_mul_f64 v[72:73], v[54:55], v[144:145]
	v_fma_f64 v[121:122], v[74:75], v[129:130], v[36:37]
	v_fma_f64 v[98:99], v[52:53], v[138:139], v[66:67]
	v_fma_f64 v[104:105], v[28:29], v[138:139], -v[62:63]
	s_waitcnt vmcnt(7) lgkmcnt(0)
	v_mul_f64 v[36:37], v[68:69], v[163:164]
	v_mul_f64 v[52:53], v[40:41], v[163:164]
	v_fma_f64 v[62:63], v[54:55], v[142:143], v[38:39]
	s_waitcnt vmcnt(6)
	v_mul_f64 v[54:55], v[70:71], v[167:168]
	v_fma_f64 v[64:65], v[30:31], v[142:143], -v[72:73]
	ds_read2_b64 v[28:31], v159 offset0:40 offset1:140
	s_waitcnt vmcnt(5)
	v_mul_f64 v[76:77], v[32:33], v[171:172]
	v_add_f64 v[142:143], v[92:93], v[100:101]
	v_fma_f64 v[66:67], v[40:41], v[161:162], -v[36:37]
	v_mul_f64 v[40:41], v[42:43], v[167:168]
	v_fma_f64 v[52:53], v[68:69], v[161:162], v[52:53]
	v_fma_f64 v[68:69], v[42:43], v[165:166], -v[54:55]
	s_waitcnt vmcnt(4)
	v_mul_f64 v[42:43], v[34:35], v[175:176]
	s_waitcnt lgkmcnt(0)
	v_mul_f64 v[72:73], v[28:29], v[171:172]
	v_mul_f64 v[78:79], v[30:31], v[175:176]
	ds_read2_b64 v[36:39], v150 offset0:8 offset1:108
	v_mov_b32_e32 v161, 3
	v_fma_f64 v[40:41], v[70:71], v[165:166], v[40:41]
	v_add_f64 v[162:163], v[197:198], -v[94:95]
	v_lshlrev_b32_sdwa v47, v161, v47 dst_sel:DWORD dst_unused:UNUSED_PAD src0_sel:DWORD src1_sel:BYTE_0
	s_waitcnt vmcnt(3) lgkmcnt(0)
	v_mul_f64 v[54:55], v[36:37], v[179:180]
	v_fma_f64 v[70:71], v[30:31], v[173:174], v[42:43]
	s_waitcnt vmcnt(2)
	v_mul_f64 v[30:31], v[38:39], v[183:184]
	v_fma_f64 v[74:75], v[32:33], v[169:170], -v[72:73]
	v_fma_f64 v[72:73], v[28:29], v[169:170], v[76:77]
	v_fma_f64 v[76:77], v[34:35], v[173:174], -v[78:79]
	ds_read2_b64 v[32:35], v158 offset0:112 offset1:212
	v_mul_f64 v[28:29], v[24:25], v[179:180]
	v_mul_f64 v[42:43], v[26:27], v[183:184]
	v_fma_f64 v[78:79], v[24:25], v[177:178], -v[54:55]
	s_waitcnt vmcnt(1)
	v_mul_f64 v[54:55], v[20:21], v[187:188]
	s_waitcnt lgkmcnt(0)
	v_mul_f64 v[24:25], v[32:33], v[187:188]
	v_fma_f64 v[84:85], v[26:27], v[181:182], -v[30:31]
	v_add_f64 v[26:27], v[44:45], v[199:200]
	s_waitcnt vmcnt(0)
	v_mul_f64 v[123:124], v[34:35], v[191:192]
	v_fma_f64 v[125:126], v[36:37], v[177:178], v[28:29]
	v_mul_f64 v[28:29], v[22:23], v[191:192]
	v_fma_f64 v[42:43], v[38:39], v[181:182], v[42:43]
	v_fma_f64 v[129:130], v[32:33], v[185:186], v[54:55]
	v_fma_f64 v[127:128], v[20:21], v[185:186], -v[24:25]
	v_add_f64 v[20:21], v[16:17], v[44:45]
	v_fma_f64 v[16:17], v[26:27], -0.5, v[16:17]
	v_add_f64 v[54:55], v[193:194], -v[201:202]
	v_fma_f64 v[123:124], v[22:23], v[189:190], -v[123:124]
	v_mul_u32_u24_e32 v22, 0xf0, v57
	v_lshlrev_b32_sdwa v23, v161, v50 dst_sel:DWORD dst_unused:UNUSED_PAD src0_sel:DWORD src1_sel:BYTE_0
	v_add3_u32 v133, 0, v22, v23
	v_fma_f64 v[131:132], v[34:35], v[189:190], v[28:29]
	v_add_f64 v[138:139], v[20:21], v[199:200]
	ds_read2_b64 v[20:23], v135 offset1:100
	ds_read2_b64 v[24:27], v155 offset0:72 offset1:172
	v_fma_f64 v[140:141], v[54:55], s[18:19], v[16:17]
	ds_read2_b64 v[28:31], v151 offset0:144 offset1:244
	ds_read2_b64 v[32:35], v149 offset0:88 offset1:188
	;; [unrolled: 1-line block ×3, first 2 shown]
	s_waitcnt lgkmcnt(0)
	s_barrier
	v_fma_f64 v[16:17], v[54:55], s[20:21], v[16:17]
	v_fma_f64 v[54:55], v[142:143], -0.5, v[18:19]
	v_add_f64 v[142:143], v[86:87], v[102:103]
	ds_write2_b64 v133, v[138:139], v[140:141] offset1:10
	v_add_f64 v[138:139], v[193:194], v[201:202]
	v_add_f64 v[140:141], v[197:198], v[94:95]
	;; [unrolled: 1-line block ×5, first 2 shown]
	v_add3_u32 v178, 0, v46, v47
	ds_write_b64 v133, v[16:17] offset:160
	v_mul_u32_u24_e32 v46, 0xf0, v48
	v_fma_f64 v[138:139], v[138:139], -0.5, v[20:21]
	v_fma_f64 v[140:141], v[140:141], -0.5, v[22:23]
	v_add_f64 v[20:21], v[12:13], v[86:87]
	v_fma_f64 v[12:13], v[142:143], -0.5, v[12:13]
	v_add_f64 v[22:23], v[195:196], -v[82:83]
	v_add_f64 v[18:19], v[18:19], v[100:101]
	v_fma_f64 v[142:143], v[162:163], s[18:19], v[54:55]
	v_fma_f64 v[54:55], v[162:163], s[20:21], v[54:55]
	ds_write2_b64 v178, v[18:19], v[142:143] offset1:10
	ds_write_b64 v178, v[54:55] offset:160
	v_add_f64 v[16:17], v[20:21], v[102:103]
	v_fma_f64 v[20:21], v[22:23], s[18:19], v[12:13]
	v_add_f64 v[18:19], v[88:89], v[96:97]
	v_lshlrev_b32_e32 v47, 3, v49
	v_add3_u32 v179, 0, v46, v47
	v_fma_f64 v[12:13], v[22:23], s[20:21], v[12:13]
	v_add_f64 v[22:23], v[90:91], v[104:105]
	v_add_f64 v[46:47], v[119:120], -v[80:81]
	v_add_f64 v[142:143], v[24:25], v[195:196]
	ds_write2_b64 v179, v[16:17], v[20:21] offset1:10
	v_add_f64 v[16:17], v[195:196], v[82:83]
	v_add_f64 v[20:21], v[119:120], v[80:81]
	v_fma_f64 v[18:19], v[18:19], -0.5, v[14:15]
	v_add_f64 v[14:15], v[14:15], v[88:89]
	ds_write_b64 v179, v[12:13] offset:160
	v_add_f64 v[92:93], v[92:93], -v[100:101]
	v_add_f64 v[119:120], v[26:27], v[119:120]
	v_add_f64 v[94:95], v[164:165], v[94:95]
	v_fma_f64 v[162:163], v[16:17], -0.5, v[24:25]
	v_fma_f64 v[166:167], v[20:21], -0.5, v[26:27]
	v_add_f64 v[16:17], v[8:9], v[90:91]
	v_fma_f64 v[8:9], v[22:23], -0.5, v[8:9]
	v_add_f64 v[20:21], v[117:118], -v[98:99]
	v_add_f64 v[14:15], v[14:15], v[96:97]
	v_fma_f64 v[22:23], v[46:47], s[18:19], v[18:19]
	v_fma_f64 v[12:13], v[46:47], s[20:21], v[18:19]
	v_mul_u32_u24_e32 v24, 0xf0, v51
	v_lshlrev_b32_e32 v25, 3, v56
	v_add3_u32 v180, 0, v24, v25
	v_add_f64 v[16:17], v[16:17], v[104:105]
	v_fma_f64 v[18:19], v[20:21], s[18:19], v[8:9]
	v_fma_f64 v[8:9], v[20:21], s[20:21], v[8:9]
	ds_write2_b64 v180, v[14:15], v[22:23] offset1:10
	v_add_f64 v[14:15], v[60:61], v[64:65]
	ds_write_b64 v180, v[12:13] offset:160
	v_mul_u32_u24_e32 v12, 0xf0, v107
	v_lshlrev_b32_e32 v13, 3, v108
	v_add3_u32 v181, 0, v12, v13
	ds_write2_b64 v181, v[16:17], v[18:19] offset1:10
	v_add_f64 v[12:13], v[117:118], v[98:99]
	v_add_f64 v[16:17], v[121:122], v[62:63]
	v_fma_f64 v[14:15], v[14:15], -0.5, v[10:11]
	v_add_f64 v[10:11], v[10:11], v[60:61]
	v_add_f64 v[18:19], v[121:122], -v[62:63]
	v_add_f64 v[20:21], v[66:67], v[74:75]
	v_add_f64 v[107:108], v[28:29], v[117:118]
	ds_write_b64 v181, v[8:9] offset:160
	v_fma_f64 v[117:118], v[12:13], -0.5, v[28:29]
	v_fma_f64 v[168:169], v[16:17], -0.5, v[30:31]
	v_add_f64 v[16:17], v[4:5], v[66:67]
	v_add_f64 v[10:11], v[10:11], v[64:65]
	v_fma_f64 v[12:13], v[18:19], s[18:19], v[14:15]
	v_fma_f64 v[4:5], v[20:21], -0.5, v[4:5]
	v_add_f64 v[20:21], v[52:53], -v[72:73]
	v_fma_f64 v[14:15], v[18:19], s[20:21], v[14:15]
	v_mul_u32_u24_e32 v8, 0xf0, v58
	v_lshlrev_b32_e32 v9, 3, v59
	v_add3_u32 v182, 0, v8, v9
	v_add_f64 v[8:9], v[16:17], v[74:75]
	ds_write2_b64 v182, v[10:11], v[12:13] offset1:10
	v_add_f64 v[12:13], v[68:69], v[76:77]
	v_fma_f64 v[10:11], v[20:21], s[18:19], v[4:5]
	ds_write_b64 v182, v[14:15] offset:160
	v_mul_u32_u24_e32 v14, 0xf0, v111
	v_lshlrev_b32_e32 v15, 3, v112
	v_add3_u32 v183, 0, v14, v15
	v_fma_f64 v[4:5], v[20:21], s[20:21], v[4:5]
	v_add_f64 v[16:17], v[40:41], v[70:71]
	v_add_f64 v[14:15], v[52:53], v[72:73]
	ds_write2_b64 v183, v[8:9], v[10:11] offset1:10
	v_fma_f64 v[8:9], v[12:13], -0.5, v[6:7]
	v_add_f64 v[6:7], v[6:7], v[68:69]
	v_add_f64 v[10:11], v[40:41], -v[70:71]
	v_add_f64 v[12:13], v[78:79], v[127:128]
	ds_write_b64 v183, v[4:5] offset:160
	v_fma_f64 v[172:173], v[16:17], -0.5, v[34:35]
	v_mul_u32_u24_e32 v16, 0xf0, v110
	v_lshlrev_b32_e32 v17, 3, v109
	v_add3_u32 v184, 0, v16, v17
	v_add_f64 v[4:5], v[6:7], v[76:77]
	v_fma_f64 v[6:7], v[10:11], s[18:19], v[8:9]
	v_fma_f64 v[8:9], v[10:11], s[20:21], v[8:9]
	v_add_f64 v[10:11], v[0:1], v[78:79]
	v_fma_f64 v[0:1], v[12:13], -0.5, v[0:1]
	v_add_f64 v[12:13], v[125:126], -v[129:130]
	v_fma_f64 v[170:171], v[14:15], -0.5, v[32:33]
	v_add_f64 v[14:15], v[84:85], v[123:124]
	ds_write2_b64 v184, v[4:5], v[6:7] offset1:10
	ds_write_b64 v184, v[8:9] offset:160
	v_mul_u32_u24_e32 v18, 0xf0, v114
	v_lshlrev_b32_e32 v19, 3, v113
	v_add3_u32 v185, 0, v18, v19
	v_fma_f64 v[6:7], v[12:13], s[18:19], v[0:1]
	v_fma_f64 v[0:1], v[12:13], s[20:21], v[0:1]
	v_add_f64 v[4:5], v[10:11], v[127:128]
	v_fma_f64 v[8:9], v[14:15], -0.5, v[2:3]
	v_add_f64 v[2:3], v[2:3], v[84:85]
	v_add_f64 v[14:15], v[42:43], -v[131:132]
	v_add_f64 v[10:11], v[125:126], v[129:130]
	v_add_f64 v[16:17], v[42:43], v[131:132]
	v_add_f64 v[86:87], v[86:87], -v[102:103]
	ds_write_b64 v185, v[0:1] offset:160
	v_mul_u32_u24_e32 v0, 0xf0, v115
	v_lshlrev_b32_e32 v1, 3, v116
	v_add_f64 v[115:116], v[144:145], v[201:202]
	v_add_f64 v[144:145], v[44:45], -v[199:200]
	ds_write2_b64 v185, v[4:5], v[6:7] offset1:10
	v_add_f64 v[2:3], v[2:3], v[123:124]
	v_fma_f64 v[4:5], v[14:15], s[18:19], v[8:9]
	v_fma_f64 v[6:7], v[14:15], s[20:21], v[8:9]
	v_add_f64 v[88:89], v[88:89], -v[96:97]
	v_add_f64 v[90:91], v[90:91], -v[104:105]
	v_add_f64 v[121:122], v[30:31], v[121:122]
	v_fma_f64 v[100:101], v[144:145], s[20:21], v[138:139]
	v_fma_f64 v[138:139], v[144:145], s[18:19], v[138:139]
	;; [unrolled: 1-line block ×3, first 2 shown]
	v_add_f64 v[60:61], v[60:61], -v[64:65]
	v_add_f64 v[111:112], v[32:33], v[52:53]
	v_add_f64 v[64:65], v[66:67], -v[74:75]
	v_add3_u32 v186, 0, v0, v1
	v_add_f64 v[174:175], v[34:35], v[40:41]
	v_add_f64 v[109:110], v[36:37], v[125:126]
	v_fma_f64 v[113:114], v[10:11], -0.5, v[36:37]
	v_fma_f64 v[125:126], v[16:17], -0.5, v[38:39]
	v_add_f64 v[176:177], v[38:39], v[42:43]
	ds_write2_b64 v186, v[2:3], v[4:5] offset1:10
	ds_write_b64 v186, v[6:7] offset:160
	s_waitcnt lgkmcnt(0)
	s_barrier
	ds_read2_b64 v[4:7], v135 offset1:100
	ds_read2_b64 v[0:3], v155 offset0:72 offset1:172
	ds_read2_b64 v[56:59], v149 offset0:88 offset1:188
	ds_read2_b64 v[32:35], v160 offset0:32 offset1:132
	ds_read2_b64 v[52:55], v147 offset0:48 offset1:148
	ds_read2_b64 v[24:27], v156 offset0:120 offset1:220
	ds_read2_b64 v[48:51], v150 offset0:8 offset1:108
	ds_read2_b64 v[16:19], v154 offset0:80 offset1:180
	ds_read2_b64 v[44:47], v148 offset0:96 offset1:196
	ds_read2_b64 v[12:15], v159 offset0:40 offset1:140
	ds_read2_b64 v[40:43], v151 offset0:144 offset1:244
	ds_read2_b64 v[36:39], v153 offset0:104 offset1:204
	ds_read2_b64 v[28:31], v157 offset0:64 offset1:164
	ds_read2_b64 v[20:23], v152 offset0:152 offset1:252
	ds_read2_b64 v[8:11], v158 offset0:112 offset1:212
	s_waitcnt lgkmcnt(0)
	s_barrier
	ds_write2_b64 v133, v[115:116], v[100:101] offset1:10
	ds_write_b64 v133, v[138:139] offset:160
	ds_write2_b64 v178, v[94:95], v[144:145] offset1:10
	v_fma_f64 v[92:93], v[92:93], s[18:19], v[140:141]
	v_add_f64 v[82:83], v[142:143], v[82:83]
	v_fma_f64 v[94:95], v[86:87], s[20:21], v[162:163]
	v_add_f64 v[80:81], v[119:120], v[80:81]
	v_fma_f64 v[96:97], v[88:89], s[20:21], v[166:167]
	v_add_f64 v[66:67], v[68:69], -v[76:77]
	v_fma_f64 v[86:87], v[86:87], s[18:19], v[162:163]
	v_fma_f64 v[88:89], v[88:89], s[18:19], v[166:167]
	v_add_f64 v[98:99], v[107:108], v[98:99]
	v_fma_f64 v[100:101], v[90:91], s[20:21], v[117:118]
	v_add_f64 v[74:75], v[78:79], -v[127:128]
	v_add_f64 v[78:79], v[84:85], -v[123:124]
	v_fma_f64 v[90:91], v[90:91], s[18:19], v[117:118]
	v_add_f64 v[62:63], v[121:122], v[62:63]
	v_fma_f64 v[68:69], v[60:61], s[20:21], v[168:169]
	v_fma_f64 v[60:61], v[60:61], s[18:19], v[168:169]
	v_add_f64 v[72:73], v[111:112], v[72:73]
	v_fma_f64 v[76:77], v[64:65], s[20:21], v[170:171]
	v_fma_f64 v[64:65], v[64:65], s[18:19], v[170:171]
	ds_write_b64 v178, v[92:93] offset:160
	ds_write2_b64 v179, v[82:83], v[94:95] offset1:10
	ds_write_b64 v179, v[86:87] offset:160
	ds_write2_b64 v180, v[80:81], v[96:97] offset1:10
	;; [unrolled: 2-line block ×3, first 2 shown]
	v_add_f64 v[70:71], v[174:175], v[70:71]
	v_fma_f64 v[80:81], v[66:67], s[20:21], v[172:173]
	v_fma_f64 v[66:67], v[66:67], s[18:19], v[172:173]
	v_add_f64 v[82:83], v[109:110], v[129:130]
	v_fma_f64 v[84:85], v[74:75], s[20:21], v[113:114]
	v_fma_f64 v[74:75], v[74:75], s[18:19], v[113:114]
	;; [unrolled: 1-line block ×4, first 2 shown]
	s_movk_i32 s18, 0x89
	ds_write_b64 v181, v[90:91] offset:160
	v_add_f64 v[86:87], v[176:177], v[131:132]
	ds_write2_b64 v182, v[62:63], v[68:69] offset1:10
	ds_write_b64 v182, v[60:61] offset:160
	ds_write2_b64 v183, v[72:73], v[76:77] offset1:10
	ds_write_b64 v183, v[64:65] offset:160
	;; [unrolled: 2-line block ×5, first 2 shown]
	v_mul_lo_u16_sdwa v60, v134, s18 dst_sel:DWORD dst_unused:UNUSED_PAD src0_sel:BYTE_0 src1_sel:DWORD
	v_lshrrev_b16_e32 v122, 12, v60
	v_mul_lo_u16_e32 v60, 30, v122
	v_sub_u16_e32 v123, v134, v60
	v_mov_b32_e32 v60, 9
	v_mul_u32_u24_sdwa v61, v123, v60 dst_sel:DWORD dst_unused:UNUSED_PAD src0_sel:BYTE_0 src1_sel:DWORD
	v_lshlrev_b32_e32 v64, 4, v61
	s_waitcnt lgkmcnt(0)
	s_barrier
	global_load_dwordx4 v[65:68], v64, s[8:9] offset:336
	v_mul_lo_u16_sdwa v61, v106, s18 dst_sel:DWORD dst_unused:UNUSED_PAD src0_sel:BYTE_0 src1_sel:DWORD
	v_lshrrev_b16_e32 v162, 12, v61
	v_mul_lo_u16_e32 v61, 30, v162
	v_sub_u16_e32 v163, v106, v61
	v_mul_u32_u24_sdwa v60, v163, v60 dst_sel:DWORD dst_unused:UNUSED_PAD src0_sel:BYTE_0 src1_sel:DWORD
	v_lshlrev_b32_e32 v112, 4, v60
	global_load_dwordx4 v[69:72], v112, s[8:9] offset:336
	global_load_dwordx4 v[78:81], v64, s[8:9] offset:368
	;; [unrolled: 1-line block ×8, first 2 shown]
	s_mov_b32 s18, 0x8889
	v_mul_u32_u24_sdwa v60, v146, s18 dst_sel:DWORD dst_unused:UNUSED_PAD src0_sel:WORD_0 src1_sel:DWORD
	v_lshrrev_b32_e32 v165, 20, v60
	v_mul_lo_u16_e32 v60, 30, v165
	v_sub_u16_e32 v164, v146, v60
	v_mul_u32_u24_e32 v60, 9, v164
	v_lshlrev_b32_e32 v113, 4, v60
	global_load_dwordx4 v[118:121], v113, s[8:9] offset:320
	global_load_dwordx4 v[124:127], v64, s[8:9] offset:352
	;; [unrolled: 1-line block ×5, first 2 shown]
	ds_read2_b64 v[104:107], v149 offset0:88 offset1:188
	global_load_dwordx4 v[166:169], v64, s[8:9] offset:384
	global_load_dwordx4 v[170:173], v113, s[8:9] offset:368
	;; [unrolled: 1-line block ×5, first 2 shown]
	ds_read2_b64 v[178:181], v147 offset0:48 offset1:148
	global_load_dwordx4 v[182:185], v113, s[8:9] offset:384
	global_load_dwordx4 v[206:209], v112, s[8:9] offset:448
	;; [unrolled: 1-line block ×6, first 2 shown]
	ds_read2_b64 v[202:205], v151 offset0:144 offset1:244
	s_movk_i32 s18, 0x4000
	s_movk_i32 s21, 0x1000
	s_movk_i32 s20, 0x3000
	s_movk_i32 s19, 0x5000
	s_waitcnt vmcnt(24) lgkmcnt(2)
	v_mul_f64 v[73:74], v[104:105], v[67:68]
	v_mul_f64 v[67:68], v[56:57], v[67:68]
	s_waitcnt vmcnt(21)
	v_mul_f64 v[82:83], v[54:55], v[90:91]
	v_fma_f64 v[84:85], v[56:57], v[65:66], -v[73:74]
	v_mul_f64 v[56:57], v[106:107], v[71:72]
	v_fma_f64 v[76:77], v[104:105], v[65:66], v[67:68]
	v_mul_f64 v[65:66], v[58:59], v[71:72]
	s_waitcnt lgkmcnt(1)
	v_mul_f64 v[71:72], v[178:179], v[80:81]
	v_mul_f64 v[73:74], v[52:53], v[80:81]
	;; [unrolled: 1-line block ×3, first 2 shown]
	s_waitcnt vmcnt(20)
	v_mul_f64 v[90:91], v[48:49], v[94:95]
	v_fma_f64 v[104:105], v[58:59], v[69:70], -v[56:57]
	ds_read2_b64 v[56:59], v150 offset0:8 offset1:108
	v_fma_f64 v[66:67], v[106:107], v[69:70], v[65:66]
	v_fma_f64 v[86:87], v[52:53], v[78:79], -v[71:72]
	global_load_dwordx4 v[68:71], v113, s[8:9] offset:416
	v_fma_f64 v[78:79], v[178:179], v[78:79], v[73:74]
	v_fma_f64 v[72:73], v[180:181], v[88:89], v[82:83]
	global_load_dwordx4 v[178:181], v64, s[8:9] offset:448
	s_waitcnt lgkmcnt(0)
	v_mul_f64 v[74:75], v[56:57], v[94:95]
	v_fma_f64 v[106:107], v[54:55], v[88:89], -v[80:81]
	ds_read2_b64 v[52:55], v148 offset0:96 offset1:196
	v_fma_f64 v[80:81], v[56:57], v[92:93], v[90:91]
	s_waitcnt vmcnt(21)
	v_mul_f64 v[56:57], v[50:51], v[98:99]
	s_waitcnt vmcnt(19)
	v_mul_f64 v[94:95], v[46:47], v[110:111]
	;; [unrolled: 2-line block ×3, first 2 shown]
	s_waitcnt lgkmcnt(0)
	v_mul_f64 v[64:65], v[52:53], v[102:103]
	v_fma_f64 v[88:89], v[48:49], v[92:93], -v[74:75]
	v_mul_f64 v[48:49], v[58:59], v[98:99]
	v_mul_f64 v[74:75], v[44:45], v[102:103]
	;; [unrolled: 1-line block ×4, first 2 shown]
	v_fma_f64 v[90:91], v[44:45], v[100:101], -v[64:65]
	v_mul_f64 v[44:45], v[40:41], v[116:117]
	v_fma_f64 v[110:111], v[50:51], v[96:97], -v[48:49]
	ds_read2_b64 v[48:51], v160 offset0:32 offset1:132
	v_fma_f64 v[82:83], v[52:53], v[100:101], v[74:75]
	v_fma_f64 v[74:75], v[54:55], v[108:109], v[94:95]
	v_fma_f64 v[94:95], v[40:41], v[114:115], -v[98:99]
	v_mul_f64 v[40:41], v[204:205], v[120:121]
	ds_read2_b64 v[52:55], v153 offset0:104 offset1:204
	v_fma_f64 v[96:97], v[58:59], v[96:97], v[56:57]
	s_waitcnt lgkmcnt(1)
	v_mul_f64 v[56:57], v[50:51], v[126:127]
	v_mul_f64 v[58:59], v[34:35], v[126:127]
	v_mul_f64 v[64:65], v[48:49], v[130:131]
	v_mul_f64 v[98:99], v[32:33], v[130:131]
	s_waitcnt lgkmcnt(0)
	v_mul_f64 v[100:101], v[52:53], v[140:141]
	v_fma_f64 v[112:113], v[46:47], v[108:109], -v[92:93]
	v_mul_f64 v[46:47], v[42:43], v[120:121]
	v_fma_f64 v[92:93], v[42:43], v[118:119], -v[40:41]
	ds_read2_b64 v[40:43], v156 offset0:120 offset1:220
	v_fma_f64 v[114:115], v[202:203], v[114:115], v[44:45]
	v_fma_f64 v[44:45], v[34:35], v[124:125], -v[56:57]
	v_fma_f64 v[34:35], v[50:51], v[124:125], v[58:59]
	ds_read2_b64 v[56:59], v157 offset0:64 offset1:164
	v_fma_f64 v[50:51], v[32:33], v[128:129], -v[64:65]
	v_fma_f64 v[48:49], v[48:49], v[128:129], v[98:99]
	v_fma_f64 v[120:121], v[36:37], v[138:139], -v[100:101]
	v_mul_f64 v[32:33], v[36:37], v[140:141]
	v_mul_f64 v[36:37], v[54:55], v[144:145]
	;; [unrolled: 1-line block ×3, first 2 shown]
	s_waitcnt lgkmcnt(1)
	v_mul_f64 v[98:99], v[42:43], v[168:169]
	v_mul_f64 v[100:101], v[26:27], v[168:169]
	;; [unrolled: 1-line block ×3, first 2 shown]
	v_fma_f64 v[46:47], v[204:205], v[118:119], v[46:47]
	v_mul_f64 v[102:103], v[40:41], v[172:173]
	s_waitcnt vmcnt(9) lgkmcnt(0)
	v_mul_f64 v[118:119], v[56:57], v[176:177]
	v_fma_f64 v[116:117], v[52:53], v[138:139], v[32:33]
	v_fma_f64 v[32:33], v[38:39], v[142:143], -v[36:37]
	v_fma_f64 v[52:53], v[54:55], v[142:143], v[64:65]
	v_fma_f64 v[38:39], v[26:27], v[166:167], -v[98:99]
	v_fma_f64 v[26:27], v[42:43], v[166:167], v[100:101]
	v_fma_f64 v[54:55], v[40:41], v[170:171], v[108:109]
	ds_read2_b64 v[40:43], v154 offset0:80 offset1:180
	v_fma_f64 v[64:65], v[24:25], v[170:171], -v[102:103]
	v_fma_f64 v[36:37], v[28:29], v[174:175], -v[118:119]
	v_mul_f64 v[24:25], v[28:29], v[176:177]
	s_waitcnt vmcnt(7)
	v_mul_f64 v[28:29], v[58:59], v[184:185]
	v_mul_f64 v[98:99], v[30:31], v[184:185]
	s_waitcnt vmcnt(5) lgkmcnt(0)
	v_mul_f64 v[100:101], v[42:43], v[188:189]
	v_mul_f64 v[102:103], v[18:19], v[188:189]
	s_waitcnt vmcnt(4)
	v_mul_f64 v[108:109], v[40:41], v[192:193]
	v_mul_f64 v[128:129], v[16:17], v[192:193]
	ds_read2_b64 v[124:127], v152 offset0:152 offset1:252
	v_fma_f64 v[118:119], v[56:57], v[174:175], v[24:25]
	v_fma_f64 v[24:25], v[30:31], v[182:183], -v[28:29]
	v_fma_f64 v[56:57], v[58:59], v[182:183], v[98:99]
	v_fma_f64 v[28:29], v[18:19], v[186:187], -v[100:101]
	s_waitcnt lgkmcnt(0)
	v_mul_f64 v[30:31], v[124:125], v[196:197]
	v_fma_f64 v[18:19], v[42:43], v[186:187], v[102:103]
	v_fma_f64 v[98:99], v[16:17], v[190:191], -v[108:109]
	v_fma_f64 v[58:59], v[40:41], v[190:191], v[128:129]
	ds_read2_b64 v[40:43], v159 offset0:40 offset1:140
	v_mul_f64 v[16:17], v[20:21], v[196:197]
	s_waitcnt vmcnt(1)
	v_mul_f64 v[100:101], v[126:127], v[70:71]
	v_mul_f64 v[70:71], v[22:23], v[70:71]
	v_fma_f64 v[20:21], v[20:21], v[194:195], -v[30:31]
	s_waitcnt vmcnt(0) lgkmcnt(0)
	v_mul_f64 v[30:31], v[42:43], v[180:181]
	v_mul_f64 v[128:129], v[40:41], v[200:201]
	;; [unrolled: 1-line block ×4, first 2 shown]
	v_fma_f64 v[102:103], v[124:125], v[194:195], v[16:17]
	v_fma_f64 v[16:17], v[22:23], v[68:69], -v[100:101]
	v_fma_f64 v[68:69], v[126:127], v[68:69], v[70:71]
	ds_read2_b64 v[124:127], v158 offset0:112 offset1:212
	v_fma_f64 v[22:23], v[14:15], v[178:179], -v[30:31]
	v_fma_f64 v[100:101], v[12:13], v[198:199], -v[128:129]
	v_mul_f64 v[30:31], v[8:9], v[208:209]
	v_fma_f64 v[14:15], v[42:43], v[178:179], v[108:109]
	s_waitcnt lgkmcnt(0)
	v_mul_f64 v[12:13], v[124:125], v[208:209]
	v_fma_f64 v[70:71], v[40:41], v[198:199], v[130:131]
	ds_read2_b64 v[40:43], v155 offset0:72 offset1:172
	v_mul_f64 v[128:129], v[126:127], v[212:213]
	v_mul_f64 v[130:131], v[10:11], v[212:213]
	v_add_f64 v[140:141], v[84:85], -v[86:87]
	v_fma_f64 v[108:109], v[124:125], v[206:207], v[30:31]
	s_waitcnt lgkmcnt(0)
	v_mul_f64 v[138:139], v[42:43], v[62:63]
	v_fma_f64 v[12:13], v[8:9], v[206:207], -v[12:13]
	v_fma_f64 v[8:9], v[42:43], v[60:61], v[132:133]
	v_add_f64 v[30:31], v[26:27], v[18:19]
	v_add_f64 v[142:143], v[90:91], -v[88:89]
	v_fma_f64 v[10:11], v[10:11], v[210:211], -v[128:129]
	v_add_f64 v[124:125], v[86:87], v[88:89]
	v_add_f64 v[128:129], v[38:39], v[28:29]
	v_fma_f64 v[42:43], v[2:3], v[60:61], -v[138:139]
	v_add_f64 v[132:133], v[44:45], -v[22:23]
	v_fma_f64 v[62:63], v[126:127], v[210:211], v[130:131]
	v_fma_f64 v[30:31], v[30:31], -0.5, v[8:9]
	v_add_f64 v[60:61], v[140:141], v[142:143]
	v_add_f64 v[130:131], v[34:35], -v[26:27]
	v_add_f64 v[138:139], v[14:15], -v[18:19]
	v_add_f64 v[140:141], v[4:5], v[84:85]
	v_fma_f64 v[124:125], v[124:125], -0.5, v[4:5]
	v_add_f64 v[142:143], v[76:77], -v[82:83]
	v_fma_f64 v[128:129], v[128:129], -0.5, v[42:43]
	v_add_f64 v[144:145], v[34:35], -v[14:15]
	v_add_f64 v[166:167], v[42:43], v[44:45]
	v_fma_f64 v[168:169], v[132:133], s[10:11], v[30:31]
	v_add_f64 v[170:171], v[38:39], -v[28:29]
	v_add_f64 v[2:3], v[44:45], -v[38:39]
	;; [unrolled: 1-line block ×3, first 2 shown]
	v_add_f64 v[130:131], v[130:131], v[138:139]
	v_add_f64 v[138:139], v[140:141], v[86:87]
	v_fma_f64 v[140:141], v[142:143], s[4:5], v[124:125]
	v_add_f64 v[172:173], v[78:79], -v[80:81]
	v_fma_f64 v[174:175], v[144:145], s[4:5], v[128:129]
	v_add_f64 v[176:177], v[26:27], -v[18:19]
	v_add_f64 v[166:167], v[166:167], v[38:39]
	v_fma_f64 v[168:169], v[170:171], s[12:13], v[168:169]
	v_add_f64 v[178:179], v[2:3], v[126:127]
	v_mul_u32_u24_e32 v188, 0x960, v122
	v_add_f64 v[126:127], v[138:139], v[88:89]
	v_lshlrev_b32_sdwa v189, v161, v123 dst_sel:DWORD dst_unused:UNUSED_PAD src0_sel:DWORD src1_sel:BYTE_0
	v_fma_f64 v[122:123], v[172:173], s[6:7], v[140:141]
	v_fma_f64 v[138:139], v[176:177], s[6:7], v[174:175]
	v_add_f64 v[140:141], v[166:167], v[28:29]
	v_fma_f64 v[2:3], v[130:131], s[14:15], v[168:169]
	v_add_f64 v[166:167], v[44:45], v[22:23]
	v_add_f64 v[168:169], v[34:35], v[14:15]
	;; [unrolled: 1-line block ×4, first 2 shown]
	v_add_f64 v[182:183], v[88:89], -v[90:91]
	v_fma_f64 v[180:181], v[178:179], s[14:15], v[138:139]
	v_add_f64 v[138:139], v[86:87], -v[84:85]
	v_add_f64 v[38:39], v[38:39], -v[44:45]
	v_fma_f64 v[42:43], v[166:167], -0.5, v[42:43]
	v_fma_f64 v[166:167], v[168:169], -0.5, v[8:9]
	v_add_f64 v[28:29], v[28:29], -v[22:23]
	v_fma_f64 v[4:5], v[126:127], -0.5, v[4:5]
	v_add_f64 v[126:127], v[26:27], -v[34:35]
	v_add_f64 v[168:169], v[18:19], -v[14:15]
	v_add_f64 v[138:139], v[138:139], v[182:183]
	v_fma_f64 v[30:31], v[132:133], s[4:5], v[30:31]
	v_fma_f64 v[184:185], v[176:177], s[4:5], v[42:43]
	;; [unrolled: 1-line block ×3, first 2 shown]
	v_add_f64 v[28:29], v[38:39], v[28:29]
	v_fma_f64 v[38:39], v[144:145], s[10:11], v[128:129]
	v_fma_f64 v[42:43], v[176:177], s[10:11], v[42:43]
	v_add_f64 v[168:169], v[126:127], v[168:169]
	v_fma_f64 v[126:127], v[170:171], s[10:11], v[166:167]
	v_fma_f64 v[186:187], v[172:173], s[10:11], v[4:5]
	;; [unrolled: 1-line block ×9, first 2 shown]
	v_mul_f64 v[44:45], v[2:3], s[6:7]
	v_fma_f64 v[126:127], v[28:29], s[14:15], v[166:167]
	v_fma_f64 v[128:129], v[168:169], s[14:15], v[128:129]
	;; [unrolled: 1-line block ×8, first 2 shown]
	v_mul_f64 v[38:39], v[126:127], s[14:15]
	v_mul_f64 v[28:29], v[128:129], s[4:5]
	v_fma_f64 v[42:43], v[172:173], s[12:13], v[166:167]
	v_fma_f64 v[130:131], v[130:131], s[14:15], v[30:31]
	v_mul_f64 v[30:31], v[124:125], s[16:17]
	v_fma_f64 v[122:123], v[60:61], s[14:15], v[122:123]
	v_add_f64 v[22:23], v[140:141], v[22:23]
	v_fma_f64 v[132:133], v[180:181], s[16:17], v[44:45]
	v_fma_f64 v[140:141], v[138:139], s[14:15], v[176:177]
	;; [unrolled: 1-line block ×4, first 2 shown]
	v_fma_f64 v[38:39], v[142:143], s[4:5], -v[38:39]
	v_fma_f64 v[60:61], v[60:61], s[14:15], v[42:43]
	v_fma_f64 v[30:31], v[130:131], s[6:7], -v[30:31]
	v_add_f64 v[138:139], v[174:175], v[22:23]
	v_add_f64 v[167:168], v[122:123], v[132:133]
	v_add_f64 v[122:123], v[122:123], -v[132:133]
	v_add_f64 v[132:133], v[106:107], v[110:111]
	v_add_f64 v[169:170], v[140:141], v[28:29]
	;; [unrolled: 1-line block ×3, first 2 shown]
	v_add_f64 v[22:23], v[174:175], -v[22:23]
	v_add_f64 v[173:174], v[60:61], v[30:31]
	v_add_f64 v[28:29], v[140:141], -v[28:29]
	v_add3_u32 v166, 0, v188, v189
	ds_read2_b64 v[42:45], v135 offset1:100
	s_waitcnt lgkmcnt(0)
	s_barrier
	ds_write2_b64 v166, v[138:139], v[167:168] offset1:30
	ds_write2_b64 v166, v[169:170], v[171:172] offset0:60 offset1:90
	ds_write2_b64 v166, v[173:174], v[22:23] offset0:120 offset1:150
	;; [unrolled: 1-line block ×3, first 2 shown]
	v_add_f64 v[4:5], v[4:5], -v[38:39]
	v_fma_f64 v[28:29], v[132:133], -0.5, v[6:7]
	v_add_f64 v[38:39], v[118:119], v[102:103]
	v_add_f64 v[132:133], v[36:37], v[20:21]
	v_add_f64 v[22:23], v[60:61], -v[30:31]
	v_add_f64 v[60:61], v[6:7], v[104:105]
	v_add_f64 v[169:170], v[66:67], -v[74:75]
	v_add_f64 v[171:172], v[120:121], -v[12:13]
	;; [unrolled: 1-line block ×4, first 2 shown]
	v_fma_f64 v[38:39], v[38:39], -0.5, v[114:115]
	v_fma_f64 v[132:133], v[132:133], -0.5, v[94:95]
	v_add_f64 v[138:139], v[112:113], -v[110:111]
	v_add_f64 v[140:141], v[120:121], -v[36:37]
	;; [unrolled: 1-line block ×5, first 2 shown]
	v_add_f64 v[60:61], v[60:61], v[106:107]
	v_add_f64 v[182:183], v[94:95], v[120:121]
	v_fma_f64 v[184:185], v[169:170], s[4:5], v[28:29]
	v_fma_f64 v[186:187], v[171:172], s[10:11], v[38:39]
	v_add_f64 v[188:189], v[36:37], -v[20:21]
	v_add_f64 v[190:191], v[72:73], -v[96:97]
	v_fma_f64 v[192:193], v[175:176], s[4:5], v[132:133]
	v_add_f64 v[194:195], v[118:119], -v[102:103]
	v_add_f64 v[30:31], v[104:105], v[112:113]
	v_add_f64 v[196:197], v[122:123], v[138:139]
	v_add_f64 v[122:123], v[182:183], v[36:37]
	v_add_f64 v[167:168], v[140:141], v[167:168]
	v_add_f64 v[173:174], v[173:174], v[177:178]
	v_fma_f64 v[138:139], v[188:189], s[12:13], v[186:187]
	v_add_f64 v[140:141], v[60:61], v[110:111]
	v_fma_f64 v[177:178], v[190:191], s[6:7], v[184:185]
	v_fma_f64 v[182:183], v[194:195], s[6:7], v[192:193]
	v_add_f64 v[184:185], v[116:117], v[108:109]
	v_add_f64 v[186:187], v[120:121], v[12:13]
	v_fma_f64 v[6:7], v[30:31], -0.5, v[6:7]
	v_add_f64 v[30:31], v[122:123], v[20:21]
	v_fma_f64 v[60:61], v[173:174], s[14:15], v[138:139]
	v_add_f64 v[192:193], v[140:141], v[112:113]
	v_add_f64 v[138:139], v[106:107], -v[104:105]
	v_fma_f64 v[122:123], v[167:168], s[14:15], v[182:183]
	v_add_f64 v[140:141], v[110:111], -v[112:113]
	v_fma_f64 v[182:183], v[184:185], -0.5, v[114:115]
	v_fma_f64 v[94:95], v[186:187], -0.5, v[94:95]
	v_add_f64 v[36:37], v[36:37], -v[120:121]
	v_add_f64 v[20:21], v[20:21], -v[12:13]
	;; [unrolled: 1-line block ×4, first 2 shown]
	v_fma_f64 v[38:39], v[171:172], s[4:5], v[38:39]
	v_add_f64 v[198:199], v[138:139], v[140:141]
	v_fma_f64 v[138:139], v[188:189], s[4:5], v[182:183]
	v_fma_f64 v[140:141], v[194:195], s[4:5], v[94:95]
	;; [unrolled: 1-line block ×3, first 2 shown]
	v_add_f64 v[20:21], v[36:37], v[20:21]
	v_fma_f64 v[36:37], v[175:176], s[10:11], v[132:133]
	v_add_f64 v[132:133], v[120:121], v[186:187]
	v_fma_f64 v[120:121], v[188:189], s[10:11], v[182:183]
	v_fma_f64 v[200:201], v[190:191], s[10:11], v[6:7]
	;; [unrolled: 1-line block ×12, first 2 shown]
	v_mul_f64 v[184:185], v[60:61], s[6:7]
	v_fma_f64 v[186:187], v[169:170], s[6:7], v[200:201]
	v_fma_f64 v[120:121], v[167:168], s[14:15], v[36:37]
	;; [unrolled: 1-line block ×5, first 2 shown]
	v_mul_f64 v[20:21], v[140:141], s[4:5]
	v_mul_f64 v[36:37], v[138:139], s[14:15]
	v_fma_f64 v[28:29], v[190:191], s[12:13], v[28:29]
	v_fma_f64 v[132:133], v[173:174], s[14:15], v[38:39]
	v_mul_f64 v[38:39], v[120:121], s[16:17]
	v_fma_f64 v[177:178], v[196:197], s[14:15], v[177:178]
	v_add_f64 v[12:13], v[30:31], v[12:13]
	v_fma_f64 v[30:31], v[122:123], s[16:17], v[184:185]
	v_fma_f64 v[94:95], v[198:199], s[14:15], v[186:187]
	;; [unrolled: 1-line block ×4, first 2 shown]
	v_fma_f64 v[36:37], v[170:171], s[4:5], -v[36:37]
	v_fma_f64 v[28:29], v[196:197], s[14:15], v[28:29]
	v_fma_f64 v[38:39], v[132:133], s[6:7], -v[38:39]
	v_add_u32_e32 v167, 0x400, v166
	ds_write2_b64 v167, v[4:5], v[22:23] offset0:112 offset1:142
	v_add_f64 v[4:5], v[192:193], v[12:13]
	v_add_f64 v[22:23], v[177:178], v[30:31]
	;; [unrolled: 1-line block ×4, first 2 shown]
	v_add_f64 v[12:13], v[192:193], -v[12:13]
	v_add_f64 v[182:183], v[28:29], v[38:39]
	v_add_f64 v[30:31], v[177:178], -v[30:31]
	v_add_f64 v[20:21], v[94:95], -v[20:21]
	v_lshlrev_b32_sdwa v94, v161, v163 dst_sel:DWORD dst_unused:UNUSED_PAD src0_sel:DWORD src1_sel:BYTE_0
	v_mul_u32_u24_e32 v95, 0x960, v162
	v_add3_u32 v161, 0, v95, v94
	ds_write2_b64 v161, v[4:5], v[22:23] offset1:30
	ds_write2_b64 v161, v[172:173], v[174:175] offset0:60 offset1:90
	ds_write2_b64 v161, v[182:183], v[12:13] offset0:120 offset1:150
	;; [unrolled: 1-line block ×3, first 2 shown]
	v_add_f64 v[20:21], v[56:57], v[68:69]
	v_add_f64 v[4:5], v[64:65], v[98:99]
	v_add_f64 v[12:13], v[28:29], -v[38:39]
	v_add_f64 v[38:39], v[24:25], v[16:17]
	v_add_f64 v[172:173], v[32:33], -v[10:11]
	;; [unrolled: 2-line block ×3, first 2 shown]
	v_add_f64 v[178:179], v[92:93], v[32:33]
	v_fma_f64 v[20:21], v[20:21], -0.5, v[46:47]
	v_fma_f64 v[4:5], v[4:5], -0.5, v[0:1]
	v_add_f64 v[182:183], v[48:49], -v[70:71]
	v_fma_f64 v[38:39], v[38:39], -0.5, v[92:93]
	v_add_f64 v[184:185], v[52:53], -v[62:63]
	v_add_f64 v[186:187], v[62:63], -v[68:69]
	;; [unrolled: 1-line block ×4, first 2 shown]
	v_fma_f64 v[188:189], v[172:173], s[10:11], v[20:21]
	v_add_f64 v[28:29], v[0:1], v[50:51]
	v_add_f64 v[30:31], v[50:51], -v[64:65]
	v_add_f64 v[36:37], v[100:101], -v[98:99]
	;; [unrolled: 1-line block ×4, first 2 shown]
	v_add_f64 v[178:179], v[178:179], v[24:25]
	v_fma_f64 v[192:193], v[182:183], s[4:5], v[4:5]
	v_add_f64 v[194:195], v[54:55], -v[58:59]
	v_fma_f64 v[196:197], v[184:185], s[4:5], v[38:39]
	v_add_f64 v[198:199], v[56:57], -v[68:69]
	v_add_f64 v[176:177], v[176:177], v[186:187]
	v_fma_f64 v[186:187], v[190:191], s[12:13], v[188:189]
	v_fma_f64 v[0:1], v[22:23], -0.5, v[0:1]
	v_add_f64 v[22:23], v[52:53], v[62:63]
	v_add_f64 v[188:189], v[32:33], v[10:11]
	v_add_f64 v[30:31], v[30:31], v[36:37]
	v_add_f64 v[36:37], v[94:95], v[174:175]
	v_fma_f64 v[94:95], v[194:195], s[6:7], v[192:193]
	v_add_f64 v[174:175], v[178:179], v[16:17]
	v_fma_f64 v[178:179], v[198:199], s[6:7], v[196:197]
	v_add_f64 v[192:193], v[64:65], -v[50:51]
	v_add_f64 v[196:197], v[98:99], -v[100:101]
	v_fma_f64 v[22:23], v[22:23], -0.5, v[46:47]
	v_fma_f64 v[92:93], v[188:189], -0.5, v[92:93]
	v_add_f64 v[24:25], v[24:25], -v[32:33]
	v_add_f64 v[32:33], v[56:57], -v[52:53]
	v_add_f64 v[174:175], v[174:175], v[10:11]
	v_add_f64 v[10:11], v[16:17], -v[10:11]
	v_add_f64 v[188:189], v[68:69], -v[62:63]
	v_add_f64 v[192:193], v[192:193], v[196:197]
	v_fma_f64 v[196:197], v[190:191], s[4:5], v[22:23]
	v_fma_f64 v[200:201], v[198:199], s[4:5], v[92:93]
	;; [unrolled: 1-line block ×4, first 2 shown]
	v_add_f64 v[28:29], v[28:29], v[64:65]
	v_add_f64 v[10:11], v[24:25], v[10:11]
	v_fma_f64 v[24:25], v[198:199], s[10:11], v[92:93]
	v_add_f64 v[32:33], v[32:33], v[188:189]
	v_fma_f64 v[92:93], v[172:173], s[12:13], v[196:197]
	v_fma_f64 v[188:189], v[184:185], s[12:13], v[200:201]
	;; [unrolled: 1-line block ×11, first 2 shown]
	v_add_f64 v[28:29], v[28:29], v[98:99]
	v_fma_f64 v[178:179], v[36:37], s[14:15], v[178:179]
	v_mul_f64 v[16:17], v[186:187], s[6:7]
	v_fma_f64 v[196:197], v[182:183], s[6:7], v[202:203]
	v_fma_f64 v[0:1], v[182:183], s[12:13], v[0:1]
	;; [unrolled: 1-line block ×7, first 2 shown]
	v_mul_f64 v[10:11], v[172:173], s[4:5]
	v_mul_f64 v[22:23], v[184:185], s[14:15]
	v_add_f64 v[28:29], v[28:29], v[100:101]
	v_fma_f64 v[94:95], v[30:31], s[14:15], v[94:95]
	v_fma_f64 v[16:17], v[178:179], s[16:17], v[16:17]
	;; [unrolled: 1-line block ×3, first 2 shown]
	v_mul_f64 v[20:21], v[182:183], s[16:17]
	v_fma_f64 v[4:5], v[194:195], s[12:13], v[4:5]
	v_fma_f64 v[24:25], v[192:193], s[14:15], v[196:197]
	;; [unrolled: 1-line block ×4, first 2 shown]
	v_fma_f64 v[22:23], v[190:191], s[4:5], -v[22:23]
	v_add_u32_e32 v162, 0x400, v161
	ds_write2_b64 v162, v[6:7], v[12:13] offset0:112 offset1:142
	v_fma_f64 v[6:7], v[176:177], s[6:7], -v[20:21]
	v_add_f64 v[12:13], v[28:29], v[174:175]
	v_add_f64 v[20:21], v[94:95], v[16:17]
	v_fma_f64 v[4:5], v[30:31], s[14:15], v[4:5]
	v_add_f64 v[30:31], v[24:25], v[10:11]
	v_add_f64 v[32:33], v[0:1], v[22:23]
	v_mul_u32_u24_e32 v92, 0x960, v165
	v_lshlrev_b32_e32 v93, 3, v164
	v_add3_u32 v165, 0, v92, v93
	ds_write2_b64 v165, v[12:13], v[20:21] offset1:30
	ds_write2_b64 v165, v[30:31], v[32:33] offset0:60 offset1:90
	v_add_f64 v[12:13], v[42:43], v[76:77]
	v_add_f64 v[38:39], v[4:5], v[6:7]
	v_add_f64 v[0:1], v[0:1], -v[22:23]
	v_add_f64 v[4:5], v[4:5], -v[6:7]
	v_add_f64 v[36:37], v[78:79], v[80:81]
	v_add_u32_e32 v204, 0x400, v165
	v_add_f64 v[28:29], v[28:29], -v[174:175]
	v_add_f64 v[8:9], v[8:9], v[34:35]
	v_add_f64 v[12:13], v[12:13], v[78:79]
	v_add_f64 v[84:85], v[84:85], -v[90:91]
	v_add_f64 v[163:164], v[86:87], -v[88:89]
	ds_write2_b64 v204, v[0:1], v[4:5] offset0:112 offset1:142
	v_add_f64 v[0:1], v[76:77], v[82:83]
	v_fma_f64 v[90:91], v[36:37], -0.5, v[42:43]
	ds_write2_b64 v165, v[38:39], v[28:29] offset0:120 offset1:150
	v_add_f64 v[8:9], v[8:9], v[26:27]
	v_add_f64 v[12:13], v[12:13], v[80:81]
	v_add_f64 v[20:21], v[76:77], -v[78:79]
	v_add_f64 v[26:27], v[82:83], -v[80:81]
	v_mul_f64 v[144:145], v[144:145], s[10:11]
	v_mul_f64 v[142:143], v[142:143], s[14:15]
	v_fma_f64 v[28:29], v[84:85], s[10:11], v[90:91]
	v_fma_f64 v[198:199], v[84:85], s[4:5], v[90:91]
	v_add_f64 v[6:7], v[8:9], v[18:19]
	v_add_f64 v[194:195], v[12:13], v[82:83]
	v_fma_f64 v[12:13], v[0:1], -0.5, v[42:43]
	v_add_f64 v[42:43], v[78:79], -v[76:77]
	v_add_f64 v[76:77], v[80:81], -v[82:83]
	v_add_f64 v[174:175], v[20:21], v[26:27]
	v_mul_f64 v[8:9], v[180:181], s[12:13]
	v_fma_f64 v[18:19], v[163:164], s[12:13], v[28:29]
	v_add_f64 v[180:181], v[6:7], v[14:15]
	v_fma_f64 v[128:129], v[128:129], s[14:15], v[144:145]
	v_fma_f64 v[78:79], v[163:164], s[4:5], v[12:13]
	;; [unrolled: 1-line block ×3, first 2 shown]
	v_add_f64 v[42:43], v[42:43], v[76:77]
	v_fma_f64 v[126:127], v[126:127], s[10:11], -v[142:143]
	v_fma_f64 v[192:193], v[2:3], s[16:17], v[8:9]
	v_fma_f64 v[196:197], v[174:175], s[14:15], v[18:19]
	v_mul_f64 v[130:131], v[130:131], s[16:17]
	v_add_f64 v[16:17], v[94:95], -v[16:17]
	v_fma_f64 v[86:87], v[84:85], s[12:13], v[78:79]
	v_fma_f64 v[88:89], v[84:85], s[6:7], v[80:81]
	v_add_f64 v[10:11], v[24:25], -v[10:11]
	v_fma_f64 v[142:143], v[163:164], s[6:7], v[198:199]
	v_add_f64 v[144:145], v[194:195], v[180:181]
	v_add_f64 v[163:164], v[196:197], v[192:193]
	v_fma_f64 v[124:125], v[124:125], s[12:13], -v[130:131]
	v_add_f64 v[130:131], v[72:73], v[96:97]
	v_fma_f64 v[200:201], v[42:43], s[14:15], v[86:87]
	v_fma_f64 v[42:43], v[42:43], s[14:15], v[88:89]
	ds_write2_b64 v165, v[16:17], v[10:11] offset0:180 offset1:210
	s_waitcnt lgkmcnt(0)
	s_barrier
	ds_read2_b64 v[0:3], v135 offset1:100
	ds_read2_b64 v[4:7], v155 offset0:72 offset1:172
	ds_read2_b64 v[24:27], v149 offset0:88 offset1:188
	;; [unrolled: 1-line block ×9, first 2 shown]
	v_add_f64 v[198:199], v[200:201], v[128:129]
	v_add_f64 v[202:203], v[42:43], v[126:127]
	ds_read2_b64 v[80:83], v151 offset0:144 offset1:244
	ds_read2_b64 v[76:79], v153 offset0:104 offset1:204
	;; [unrolled: 1-line block ×5, first 2 shown]
	s_waitcnt lgkmcnt(0)
	s_barrier
	ds_write2_b64 v166, v[144:145], v[163:164] offset1:30
	ds_write2_b64 v166, v[198:199], v[202:203] offset0:60 offset1:90
	v_add_f64 v[144:145], v[66:67], v[74:75]
	v_fma_f64 v[142:143], v[174:175], s[14:15], v[142:143]
	v_add_f64 v[114:115], v[114:115], v[116:117]
	v_fma_f64 v[130:131], v[130:131], -0.5, v[44:45]
	v_add_f64 v[174:175], v[44:45], v[66:67]
	v_add_f64 v[104:105], v[104:105], -v[112:113]
	v_add_f64 v[106:107], v[106:107], -v[110:111]
	v_add_f64 v[163:164], v[194:195], -v[180:181]
	v_fma_f64 v[44:45], v[144:145], -0.5, v[44:45]
	v_add_f64 v[116:117], v[142:143], v[124:125]
	v_add_f64 v[110:111], v[114:115], v[118:119]
	v_add_f64 v[114:115], v[66:67], -v[72:73]
	v_add_f64 v[118:119], v[74:75], -v[96:97]
	v_add_f64 v[144:145], v[174:175], v[72:73]
	v_fma_f64 v[174:175], v[104:105], s[10:11], v[130:131]
	v_add_f64 v[66:67], v[72:73], -v[66:67]
	v_add_f64 v[72:73], v[96:97], -v[74:75]
	v_fma_f64 v[180:181], v[106:107], s[4:5], v[44:45]
	v_fma_f64 v[44:45], v[106:107], s[10:11], v[44:45]
	v_add_f64 v[102:103], v[110:111], v[102:103]
	v_add_f64 v[110:111], v[114:115], v[118:119]
	v_mul_f64 v[114:115], v[122:123], s[12:13]
	v_add_f64 v[96:97], v[144:145], v[96:97]
	v_fma_f64 v[118:119], v[106:107], s[12:13], v[174:175]
	v_add_f64 v[66:67], v[66:67], v[72:73]
	v_fma_f64 v[72:73], v[104:105], s[12:13], v[180:181]
	v_fma_f64 v[44:45], v[104:105], s[6:7], v[44:45]
	v_fma_f64 v[104:105], v[104:105], s[4:5], v[130:131]
	v_mul_f64 v[122:123], v[168:169], s[10:11]
	v_add_f64 v[102:103], v[102:103], v[108:109]
	v_fma_f64 v[60:61], v[60:61], s[16:17], v[114:115]
	v_add_f64 v[74:75], v[96:97], v[74:75]
	v_fma_f64 v[96:97], v[110:111], s[14:15], v[118:119]
	v_add_f64 v[112:113], v[196:197], -v[192:193]
	v_add_f64 v[114:115], v[200:201], -v[128:129]
	v_fma_f64 v[104:105], v[106:107], s[6:7], v[104:105]
	v_add_f64 v[42:43], v[42:43], -v[126:127]
	v_add_f64 v[118:119], v[142:143], -v[124:125]
	v_fma_f64 v[72:73], v[66:67], s[14:15], v[72:73]
	v_fma_f64 v[44:45], v[66:67], s[14:15], v[44:45]
	;; [unrolled: 1-line block ×3, first 2 shown]
	v_add_f64 v[122:123], v[74:75], v[102:103]
	v_add_f64 v[124:125], v[96:97], v[60:61]
	ds_write2_b64 v166, v[116:117], v[163:164] offset0:120 offset1:150
	ds_write2_b64 v166, v[112:113], v[114:115] offset0:180 offset1:210
	;; [unrolled: 1-line block ×3, first 2 shown]
	ds_write2_b64 v161, v[122:123], v[124:125] offset1:30
	v_add_f64 v[42:43], v[54:55], v[58:59]
	v_fma_f64 v[104:105], v[110:111], s[14:15], v[104:105]
	v_add_f64 v[110:111], v[48:49], v[70:71]
	v_add_f64 v[126:127], v[72:73], v[66:67]
	v_add_f64 v[66:67], v[72:73], -v[66:67]
	v_add_f64 v[72:73], v[40:41], v[48:49]
	v_add_f64 v[50:51], v[50:51], -v[100:101]
	v_add_f64 v[64:65], v[64:65], -v[98:99]
	v_fma_f64 v[42:43], v[42:43], -0.5, v[40:41]
	v_add_f64 v[46:47], v[46:47], v[52:53]
	v_fma_f64 v[40:41], v[110:111], -0.5, v[40:41]
	v_add_f64 v[60:61], v[96:97], -v[60:61]
	v_add_f64 v[96:97], v[48:49], -v[54:55]
	;; [unrolled: 1-line block ×3, first 2 shown]
	v_add_f64 v[52:53], v[72:73], v[54:55]
	v_add_f64 v[48:49], v[54:55], -v[48:49]
	v_fma_f64 v[72:73], v[50:51], s[10:11], v[42:43]
	v_add_f64 v[54:55], v[58:59], -v[70:71]
	v_fma_f64 v[100:101], v[64:65], s[4:5], v[40:41]
	v_fma_f64 v[40:41], v[64:65], s[10:11], v[40:41]
	;; [unrolled: 1-line block ×3, first 2 shown]
	v_add_f64 v[46:47], v[46:47], v[56:57]
	v_add_f64 v[56:57], v[96:97], v[98:99]
	;; [unrolled: 1-line block ×3, first 2 shown]
	v_fma_f64 v[72:73], v[64:65], s[12:13], v[72:73]
	v_add_f64 v[48:49], v[48:49], v[54:55]
	v_fma_f64 v[54:55], v[50:51], s[12:13], v[100:101]
	v_fma_f64 v[40:41], v[50:51], s[6:7], v[40:41]
	v_mul_f64 v[144:145], v[170:171], s[14:15]
	v_mul_f64 v[106:107], v[132:133], s[16:17]
	v_fma_f64 v[42:43], v[64:65], s[6:7], v[42:43]
	v_add_f64 v[46:47], v[46:47], v[68:69]
	v_mul_f64 v[68:69], v[178:179], s[12:13]
	v_add_f64 v[52:53], v[52:53], v[70:71]
	v_fma_f64 v[64:65], v[56:57], s[14:15], v[72:73]
	v_mul_f64 v[70:71], v[188:189], s[10:11]
	v_mul_f64 v[72:73], v[190:191], s[14:15]
	v_fma_f64 v[54:55], v[48:49], s[14:15], v[54:55]
	v_fma_f64 v[40:41], v[48:49], s[14:15], v[40:41]
	v_mul_f64 v[48:49], v[176:177], s[16:17]
	v_fma_f64 v[108:109], v[138:139], s[10:11], -v[144:145]
	v_fma_f64 v[106:107], v[120:121], s[12:13], -v[106:107]
	v_fma_f64 v[42:43], v[56:57], s[14:15], v[42:43]
	v_add_f64 v[46:47], v[46:47], v[62:63]
	v_fma_f64 v[56:57], v[186:187], s[16:17], v[68:69]
	v_fma_f64 v[62:63], v[172:173], s[14:15], v[70:71]
	v_fma_f64 v[68:69], v[184:185], s[10:11], -v[72:73]
	v_fma_f64 v[48:49], v[182:183], s[12:13], -v[48:49]
	v_add_f64 v[128:129], v[44:45], v[108:109]
	v_add_f64 v[74:75], v[74:75], -v[102:103]
	v_add_f64 v[50:51], v[104:105], v[106:107]
	v_add_f64 v[44:45], v[44:45], -v[108:109]
	v_add_f64 v[58:59], v[104:105], -v[106:107]
	v_add_f64 v[70:71], v[52:53], v[46:47]
	v_add_f64 v[46:47], v[52:53], -v[46:47]
	v_add_f64 v[52:53], v[64:65], v[56:57]
	v_add_f64 v[56:57], v[64:65], -v[56:57]
	v_add_f64 v[64:65], v[54:55], v[62:63]
	v_add_f64 v[54:55], v[54:55], -v[62:63]
	v_add_f64 v[62:63], v[40:41], v[68:69]
	v_add_f64 v[40:41], v[40:41], -v[68:69]
	v_add_f64 v[68:69], v[42:43], v[48:49]
	v_add_f64 v[42:43], v[42:43], -v[48:49]
	ds_write2_b64 v161, v[126:127], v[128:129] offset0:60 offset1:90
	ds_write2_b64 v161, v[50:51], v[74:75] offset0:120 offset1:150
	;; [unrolled: 1-line block ×4, first 2 shown]
	ds_write2_b64 v165, v[70:71], v[52:53] offset1:30
	ds_write2_b64 v165, v[64:65], v[62:63] offset0:60 offset1:90
	ds_write2_b64 v165, v[68:69], v[46:47] offset0:120 offset1:150
	;; [unrolled: 1-line block ×4, first 2 shown]
	s_waitcnt lgkmcnt(0)
	s_barrier
	s_and_saveexec_b64 s[22:23], s[0:1]
	s_cbranch_execz .LBB0_13
; %bb.12:
	v_mul_u32_u24_e32 v40, 9, v146
	v_lshlrev_b32_e32 v40, 4, v40
	v_mov_b32_e32 v140, s9
	v_add_co_u32_e32 v55, vcc, s8, v40
	s_movk_i32 s9, 0x1260
	v_addc_co_u32_e32 v56, vcc, 0, v140, vcc
	v_add_co_u32_e64 v53, s[0:1], s9, v55
	v_add_co_u32_e32 v52, vcc, 0x1220, v55
	v_addc_co_u32_e64 v54, s[0:1], 0, v56, s[0:1]
	global_load_dwordx4 v[40:43], v[53:54], off offset:48
	global_load_dwordx4 v[44:47], v[53:54], off offset:32
	;; [unrolled: 1-line block ×3, first 2 shown]
	v_addc_co_u32_e32 v53, vcc, 0, v56, vcc
	v_add_co_u32_e32 v54, vcc, 0x1000, v55
	v_addc_co_u32_e32 v55, vcc, 0, v56, vcc
	global_load_dwordx4 v[96:99], v[52:53], off offset:32
	global_load_dwordx4 v[120:123], v[52:53], off offset:16
	;; [unrolled: 1-line block ×6, first 2 shown]
	ds_read2_b64 v[60:63], v160 offset0:32 offset1:132
	ds_read2_b64 v[72:75], v156 offset0:120 offset1:220
	;; [unrolled: 1-line block ×10, first 2 shown]
	v_mov_b32_e32 v52, 0xfffffc7c
	v_mov_b32_e32 v139, 0
	v_mad_u32_u24 v138, v146, 9, v52
	v_lshlrev_b64 v[52:53], 4, v[138:139]
	s_movk_i32 s0, 0x1220
	v_add_co_u32_e32 v138, vcc, s8, v52
	v_addc_co_u32_e32 v145, vcc, v140, v53, vcc
	v_add_co_u32_e32 v52, vcc, s0, v138
	v_addc_co_u32_e32 v53, vcc, 0, v145, vcc
	global_load_dwordx4 v[151:154], v[52:53], off offset:16
	s_mov_b32 s1, 0x8000
	s_waitcnt vmcnt(9) lgkmcnt(7)
	v_mul_f64 v[58:59], v[40:41], v[64:65]
	v_mul_f64 v[64:65], v[42:43], v[64:65]
	s_waitcnt vmcnt(8) lgkmcnt(1)
	v_mul_f64 v[155:156], v[46:47], v[118:119]
	v_mul_f64 v[118:119], v[44:45], v[118:119]
	s_waitcnt vmcnt(7)
	v_mul_f64 v[132:133], v[48:49], v[68:69]
	v_mul_f64 v[68:69], v[50:51], v[68:69]
	s_waitcnt vmcnt(6)
	v_mul_f64 v[159:160], v[98:99], v[102:103]
	s_waitcnt vmcnt(3)
	v_mul_f64 v[167:168], v[130:131], v[114:115]
	v_mul_f64 v[114:115], v[128:129], v[114:115]
	;; [unrolled: 1-line block ×7, first 2 shown]
	s_waitcnt vmcnt(2)
	v_mul_f64 v[169:170], v[143:144], v[106:107]
	s_waitcnt vmcnt(1) lgkmcnt(0)
	v_mul_f64 v[171:172], v[163:164], v[110:111]
	v_mul_f64 v[106:107], v[141:142], v[106:107]
	;; [unrolled: 1-line block ×3, first 2 shown]
	v_fma_f64 v[58:59], v[16:17], v[42:43], v[58:59]
	v_fma_f64 v[16:17], v[16:17], v[40:41], -v[64:65]
	v_fma_f64 v[44:45], v[90:91], v[44:45], -v[155:156]
	v_fma_f64 v[40:41], v[90:91], v[46:47], v[118:119]
	v_fma_f64 v[90:91], v[94:95], v[130:131], v[114:115]
	;; [unrolled: 1-line block ×3, first 2 shown]
	v_fma_f64 v[12:13], v[12:13], v[48:49], -v[68:69]
	v_fma_f64 v[48:49], v[8:9], v[122:123], v[157:158]
	v_fma_f64 v[8:9], v[8:9], v[120:121], -v[60:61]
	v_fma_f64 v[64:65], v[78:79], v[96:97], -v[159:160]
	v_fma_f64 v[46:47], v[78:79], v[98:99], v[102:103]
	v_fma_f64 v[60:61], v[20:21], v[126:127], v[165:166]
	v_fma_f64 v[20:21], v[20:21], v[124:125], -v[72:73]
	v_fma_f64 v[72:73], v[86:87], v[141:142], -v[169:170]
	v_fma_f64 v[86:87], v[86:87], v[143:144], v[106:107]
	v_fma_f64 v[50:51], v[82:83], v[163:164], v[110:111]
	v_add_f64 v[122:123], v[90:91], v[40:41]
	v_fma_f64 v[68:69], v[94:95], v[128:129], -v[167:168]
	v_fma_f64 v[78:79], v[82:83], v[161:162], -v[171:172]
	v_add_f64 v[42:43], v[58:59], -v[132:133]
	v_add_f64 v[98:99], v[48:49], -v[60:61]
	v_add_f64 v[106:107], v[60:61], v[132:133]
	v_add_f64 v[128:129], v[46:47], -v[90:91]
	v_add_f64 v[130:131], v[86:87], -v[40:41]
	;; [unrolled: 1-line block ×3, first 2 shown]
	v_fma_f64 v[122:123], v[122:123], -0.5, v[50:51]
	v_add_f64 v[157:158], v[64:65], v[72:73]
	v_add_f64 v[120:121], v[68:69], v[44:45]
	v_add_f64 v[82:83], v[132:133], -v[58:59]
	v_add_f64 v[96:97], v[48:49], v[58:59]
	v_add_f64 v[110:111], v[60:61], -v[48:49]
	v_add_f64 v[114:115], v[64:65], -v[68:69]
	;; [unrolled: 1-line block ×9, first 2 shown]
	v_add_f64 v[165:166], v[46:47], v[86:87]
	v_fma_f64 v[167:168], v[141:142], s[4:5], v[122:123]
	v_add_f64 v[98:99], v[98:99], v[42:43]
	v_fma_f64 v[42:43], v[106:107], -0.5, v[54:55]
	v_add_f64 v[106:107], v[128:129], v[130:131]
	v_fma_f64 v[128:129], v[157:158], -0.5, v[78:79]
	v_add_f64 v[124:125], v[46:47], -v[86:87]
	v_fma_f64 v[120:121], v[120:121], -0.5, v[78:79]
	v_add_f64 v[94:95], v[8:9], -v[16:17]
	v_add_f64 v[102:103], v[20:21], -v[12:13]
	v_fma_f64 v[96:97], v[96:97], -0.5, v[54:55]
	v_add_f64 v[82:83], v[110:111], v[82:83]
	v_fma_f64 v[110:111], v[165:166], -0.5, v[50:51]
	v_fma_f64 v[157:158], v[159:160], s[6:7], v[167:168]
	v_add_f64 v[114:115], v[114:115], v[118:119]
	v_add_f64 v[118:119], v[143:144], v[155:156]
	;; [unrolled: 1-line block ×3, first 2 shown]
	v_fma_f64 v[163:164], v[126:127], s[10:11], v[128:129]
	v_fma_f64 v[130:131], v[124:125], s[10:11], v[120:121]
	;; [unrolled: 1-line block ×20, first 2 shown]
	v_add_co_u32_e32 v124, vcc, s9, v138
	v_fma_f64 v[114:115], v[114:115], s[14:15], v[120:121]
	v_add_f64 v[120:121], v[46:47], v[50:51]
	v_addc_co_u32_e32 v125, vcc, 0, v145, vcc
	v_mul_f64 v[165:166], v[179:180], s[16:17]
	v_fma_f64 v[181:182], v[98:99], s[14:15], v[155:156]
	v_fma_f64 v[183:184], v[143:144], s[14:15], v[161:162]
	;; [unrolled: 1-line block ×4, first 2 shown]
	global_load_dwordx4 v[94:97], v[52:53], off offset:48
	v_fma_f64 v[189:190], v[82:83], s[14:15], v[157:158]
	v_fma_f64 v[110:111], v[143:144], s[14:15], v[110:111]
	v_mul_f64 v[157:158], v[185:186], s[10:11]
	v_fma_f64 v[122:123], v[141:142], s[10:11], v[122:123]
	global_load_dwordx4 v[141:144], v[124:125], off offset:16
	v_add_f64 v[90:91], v[90:91], v[120:121]
	v_add_co_u32_e32 v120, vcc, s21, v138
	v_addc_co_u32_e32 v121, vcc, 0, v145, vcc
	v_fma_f64 v[187:188], v[130:131], s[12:13], -v[165:166]
	v_fma_f64 v[193:194], v[82:83], s[14:15], v[161:162]
	v_fma_f64 v[195:196], v[110:111], s[14:15], v[157:158]
	;; [unrolled: 1-line block ×3, first 2 shown]
	global_load_dwordx4 v[155:158], v[124:125], off offset:48
	v_fma_f64 v[102:103], v[159:160], s[12:13], v[122:123]
	global_load_dwordx4 v[159:162], v[120:121], off offset:544
	global_load_dwordx4 v[163:166], v[120:121], off offset:608
	;; [unrolled: 1-line block ×5, first 2 shown]
	v_fma_f64 v[118:119], v[118:119], s[14:15], v[128:129]
	v_mul_f64 v[128:129], v[183:184], s[14:15]
	v_add_f64 v[54:55], v[48:49], v[54:55]
	v_add_f64 v[122:123], v[20:21], v[12:13]
	v_fma_f64 v[197:198], v[98:99], s[14:15], v[82:83]
	v_fma_f64 v[82:83], v[106:107], s[14:15], v[102:103]
	v_add_f64 v[102:103], v[8:9], -v[20:21]
	v_add_f64 v[40:41], v[40:41], v[90:91]
	v_add_f64 v[48:49], v[48:49], -v[58:59]
	v_fma_f64 v[191:192], v[118:119], s[10:11], -v[128:129]
	v_add_f64 v[54:55], v[60:61], v[54:55]
	v_fma_f64 v[106:107], v[122:123], -0.5, v[4:5]
	v_add_f64 v[122:123], v[16:17], -v[12:13]
	v_add_f64 v[128:129], v[60:61], -v[132:133]
	v_add_f64 v[60:61], v[8:9], v[16:17]
	v_add_f64 v[201:202], v[86:87], v[40:41]
	v_add_f64 v[40:41], v[20:21], -v[8:9]
	v_mul_f64 v[98:99], v[114:115], s[12:13]
	v_add_f64 v[54:55], v[132:133], v[54:55]
	v_fma_f64 v[126:127], v[48:49], s[10:11], v[106:107]
	v_add_f64 v[52:53], v[102:103], v[122:123]
	ds_read2_b64 v[122:125], v150 offset0:8 offset1:108
	v_fma_f64 v[102:103], v[60:61], -0.5, v[4:5]
	v_add_f64 v[4:5], v[4:5], v[8:9]
	v_add_f64 v[8:9], v[64:65], v[78:79]
	v_fma_f64 v[78:79], v[48:49], s[4:5], v[106:107]
	v_add_f64 v[199:200], v[58:59], v[54:55]
	v_add_f64 v[58:59], v[12:13], -v[16:17]
	v_fma_f64 v[90:91], v[82:83], s[16:17], v[98:99]
	v_fma_f64 v[98:99], v[128:129], s[12:13], v[126:127]
	v_fma_f64 v[86:87], v[128:129], s[4:5], v[102:103]
	v_add_f64 v[4:5], v[4:5], v[20:21]
	v_add_f64 v[8:9], v[68:69], v[8:9]
	v_fma_f64 v[68:69], v[128:129], s[6:7], v[78:79]
	v_mul_f64 v[78:79], v[82:83], s[6:7]
	v_mul_f64 v[20:21], v[118:119], s[14:15]
	ds_read2_b64 v[118:121], v147 offset0:48 offset1:148
	v_fma_f64 v[64:65], v[128:129], s[10:11], v[102:103]
	v_add_f64 v[58:59], v[40:41], v[58:59]
	v_add_f64 v[4:5], v[4:5], v[12:13]
	;; [unrolled: 1-line block ×3, first 2 shown]
	v_fma_f64 v[86:87], v[48:49], s[12:13], v[86:87]
	v_fma_f64 v[106:107], v[114:115], s[16:17], v[78:79]
	v_mul_f64 v[60:61], v[130:131], s[16:17]
	ds_read2_b64 v[130:133], v149 offset0:88 offset1:188
	ds_read2_b64 v[126:129], v148 offset0:96 offset1:196
	v_fma_f64 v[203:204], v[52:53], s[14:15], v[98:99]
	v_fma_f64 v[48:49], v[48:49], s[6:7], v[64:65]
	v_add_f64 v[4:5], v[16:17], v[4:5]
	v_add_f64 v[8:9], v[72:73], v[8:9]
	v_mul_f64 v[64:65], v[110:111], s[4:5]
	v_fma_f64 v[102:103], v[58:59], s[14:15], v[86:87]
	s_waitcnt vmcnt(8) lgkmcnt(1)
	v_mul_f64 v[82:83], v[153:154], v[132:133]
	v_mul_f64 v[98:99], v[151:152], v[132:133]
	v_add_f64 v[42:43], v[181:182], -v[187:188]
	v_fma_f64 v[12:13], v[183:184], s[4:5], -v[20:21]
	v_add_f64 v[78:79], v[181:182], v[187:188]
	v_fma_f64 v[179:180], v[179:180], s[6:7], -v[60:61]
	v_fma_f64 v[64:65], v[185:186], s[14:15], v[64:65]
	v_fma_f64 v[68:69], v[52:53], s[14:15], v[68:69]
	s_waitcnt vmcnt(7)
	v_mul_f64 v[16:17], v[94:95], v[120:121]
	v_mul_f64 v[114:115], v[96:97], v[120:121]
	v_add_f64 v[46:47], v[189:190], -v[191:192]
	v_add_f64 v[50:51], v[193:194], -v[195:196]
	v_fma_f64 v[20:21], v[58:59], s[14:15], v[48:49]
	s_waitcnt vmcnt(6)
	v_mul_f64 v[72:73], v[141:142], v[124:125]
	v_mul_f64 v[120:121], v[143:144], v[124:125]
	v_fma_f64 v[124:125], v[26:27], v[151:152], -v[82:83]
	v_fma_f64 v[16:17], v[34:35], v[96:97], v[16:17]
	v_fma_f64 v[34:35], v[34:35], v[94:95], -v[114:115]
	v_fma_f64 v[26:27], v[26:27], v[153:154], v[98:99]
	ds_read2_b64 v[96:99], v135 offset1:100
	v_add_f64 v[40:41], v[203:204], -v[179:180]
	v_fma_f64 v[72:73], v[38:39], v[143:144], v[72:73]
	v_fma_f64 v[38:39], v[38:39], v[141:142], -v[120:121]
	s_waitcnt vmcnt(5) lgkmcnt(1)
	v_mul_f64 v[86:87], v[157:158], v[128:129]
	v_mul_f64 v[110:111], v[155:156], v[128:129]
	s_waitcnt vmcnt(3)
	v_mul_f64 v[94:95], v[165:166], v[112:113]
	v_mul_f64 v[112:113], v[163:164], v[112:113]
	s_waitcnt vmcnt(2)
	;; [unrolled: 3-line block ×3, first 2 shown]
	v_mul_f64 v[149:150], v[173:174], v[100:101]
	v_mul_f64 v[151:152], v[161:162], v[108:109]
	v_fma_f64 v[128:129], v[30:31], v[155:156], -v[86:87]
	v_add_f64 v[86:87], v[16:17], v[72:73]
	v_fma_f64 v[30:31], v[30:31], v[157:158], v[110:111]
	v_fma_f64 v[181:182], v[92:93], v[163:164], -v[94:95]
	s_waitcnt vmcnt(0)
	v_mul_f64 v[94:95], v[177:178], v[104:105]
	v_fma_f64 v[183:184], v[92:93], v[165:166], v[112:113]
	v_mul_f64 v[92:93], v[159:160], v[108:109]
	v_fma_f64 v[108:109], v[88:89], v[169:170], v[147:148]
	v_fma_f64 v[185:186], v[88:89], v[167:168], -v[116:117]
	v_mul_f64 v[88:89], v[171:172], v[100:101]
	v_mul_f64 v[100:101], v[175:176], v[104:105]
	v_add_f64 v[120:121], v[124:125], -v[128:129]
	s_waitcnt lgkmcnt(0)
	v_fma_f64 v[132:133], v[86:87], -0.5, v[98:99]
	v_add_f64 v[110:111], v[26:27], -v[16:17]
	v_add_f64 v[114:115], v[30:31], -v[72:73]
	v_fma_f64 v[171:172], v[76:77], v[171:172], -v[149:150]
	v_fma_f64 v[175:176], v[84:85], v[175:176], -v[94:95]
	;; [unrolled: 1-line block ×3, first 2 shown]
	v_fma_f64 v[104:105], v[80:81], v[161:162], v[92:93]
	v_add_f64 v[80:81], v[183:184], v[108:109]
	v_add_f64 v[92:93], v[181:182], v[185:186]
	v_fma_f64 v[163:164], v[76:77], v[173:174], v[88:89]
	v_fma_f64 v[173:174], v[84:85], v[177:178], v[100:101]
	v_add_f64 v[144:145], v[34:35], -v[38:39]
	v_fma_f64 v[141:142], v[120:121], s[4:5], v[132:133]
	v_add_f64 v[100:101], v[110:111], v[114:115]
	v_add_f64 v[151:152], v[171:172], -v[175:176]
	v_fma_f64 v[110:111], v[80:81], -0.5, v[104:105]
	v_fma_f64 v[112:113], v[92:93], -0.5, v[187:188]
	v_add_f64 v[80:81], v[163:164], -v[183:184]
	v_add_f64 v[92:93], v[163:164], v[173:174]
	v_add_f64 v[114:115], v[163:164], -v[173:174]
	v_fma_f64 v[88:89], v[144:145], s[6:7], v[141:142]
	v_add_f64 v[84:85], v[173:174], -v[108:109]
	v_add_f64 v[153:154], v[181:182], -v[185:186]
	v_fma_f64 v[116:117], v[151:152], s[4:5], v[110:111]
	v_add_f64 v[141:142], v[171:172], -v[181:182]
	v_add_f64 v[147:148], v[175:176], -v[185:186]
	v_add_f64 v[149:150], v[171:172], v[175:176]
	v_fma_f64 v[159:160], v[92:93], -0.5, v[104:105]
	v_fma_f64 v[155:156], v[114:115], s[10:11], v[112:113]
	v_add_f64 v[157:158], v[183:184], -v[108:109]
	v_add_f64 v[165:166], v[80:81], v[84:85]
	v_fma_f64 v[80:81], v[153:154], s[6:7], v[116:117]
	v_add_f64 v[84:85], v[26:27], v[30:31]
	v_add_f64 v[161:162], v[141:142], v[147:148]
	v_fma_f64 v[92:93], v[149:150], -0.5, v[187:188]
	v_add_f64 v[116:117], v[183:184], -v[163:164]
	v_add_f64 v[141:142], v[108:109], -v[173:174]
	v_fma_f64 v[147:148], v[153:154], s[10:11], v[159:160]
	v_fma_f64 v[149:150], v[157:158], s[12:13], v[155:156]
	v_fma_f64 v[177:178], v[165:166], s[14:15], v[80:81]
	v_fma_f64 v[155:156], v[84:85], -0.5, v[98:99]
	v_add_f64 v[80:81], v[181:182], -v[171:172]
	v_add_f64 v[84:85], v[185:186], -v[175:176]
	v_fma_f64 v[167:168], v[157:158], s[4:5], v[92:93]
	v_add_f64 v[169:170], v[116:117], v[141:142]
	v_fma_f64 v[116:117], v[151:152], s[6:7], v[147:148]
	v_add_f64 v[82:83], v[189:190], v[191:192]
	v_add_f64 v[86:87], v[193:194], v[195:196]
	;; [unrolled: 1-line block ×3, first 2 shown]
	v_fma_f64 v[179:180], v[161:162], s[14:15], v[149:150]
	v_mul_f64 v[141:142], v[177:178], s[16:17]
	v_add_f64 v[147:148], v[16:17], -v[26:27]
	v_add_f64 v[149:150], v[72:73], -v[30:31]
	v_fma_f64 v[189:190], v[144:145], s[10:11], v[155:156]
	v_add_f64 v[191:192], v[80:81], v[84:85]
	v_fma_f64 v[167:168], v[114:115], s[12:13], v[167:168]
	v_fma_f64 v[193:194], v[169:170], s[14:15], v[116:117]
	v_add_f64 v[44:45], v[102:103], -v[12:13]
	v_add_f64 v[52:53], v[68:69], -v[106:107]
	;; [unrolled: 1-line block ×3, first 2 shown]
	v_add_f64 v[80:81], v[102:103], v[12:13]
	v_fma_f64 v[12:13], v[100:101], s[14:15], v[88:89]
	v_add_f64 v[88:89], v[68:69], v[106:107]
	v_fma_f64 v[68:69], v[157:158], s[10:11], v[92:93]
	;; [unrolled: 2-line block ×3, first 2 shown]
	v_add_f64 v[48:49], v[20:21], -v[64:65]
	v_add_f64 v[84:85], v[20:21], v[64:65]
	v_fma_f64 v[20:21], v[179:180], s[12:13], -v[141:142]
	v_add_f64 v[64:65], v[147:148], v[149:150]
	v_fma_f64 v[102:103], v[120:121], s[6:7], v[189:190]
	v_fma_f64 v[189:190], v[191:192], s[14:15], v[167:168]
	v_mul_f64 v[116:117], v[193:194], s[14:15]
	v_fma_f64 v[141:142], v[144:145], s[4:5], v[155:156]
	v_fma_f64 v[155:156], v[151:152], s[10:11], v[110:111]
	v_mul_u32_u24_e32 v110, 9, v134
	v_lshlrev_b32_e32 v110, 4, v110
	v_add_co_u32_e32 v135, vcc, s8, v110
	v_addc_co_u32_e32 v138, vcc, 0, v140, vcc
	v_add_co_u32_e32 v147, vcc, s0, v135
	v_fma_f64 v[106:107], v[153:154], s[4:5], v[159:160]
	v_fma_f64 v[8:9], v[157:158], s[6:7], v[8:9]
	v_addc_co_u32_e32 v148, vcc, 0, v138, vcc
	v_add_co_u32_e32 v167, vcc, s21, v135
	v_add_f64 v[54:55], v[197:198], -v[90:91]
	v_add_f64 v[90:91], v[197:198], v[90:91]
	v_fma_f64 v[195:196], v[64:65], s[14:15], v[102:103]
	v_fma_f64 v[197:198], v[189:190], s[10:11], -v[116:117]
	v_fma_f64 v[102:103], v[120:121], s[12:13], v[141:142]
	v_fma_f64 v[68:69], v[114:115], s[6:7], v[68:69]
	v_addc_co_u32_e32 v168, vcc, 0, v138, vcc
	global_load_dwordx4 v[110:113], v[147:148], off offset:32
	global_load_dwordx4 v[114:117], v[147:148], off offset:16
	;; [unrolled: 1-line block ×3, first 2 shown]
	s_nop 0
	global_load_dwordx4 v[147:150], v[147:148], off offset:48
	v_add_co_u32_e32 v159, vcc, s9, v135
	v_addc_co_u32_e32 v160, vcc, 0, v138, vcc
	v_fma_f64 v[106:107], v[151:152], s[12:13], v[106:107]
	v_fma_f64 v[120:121], v[120:121], s[10:11], v[132:133]
	;; [unrolled: 1-line block ×4, first 2 shown]
	global_load_dwordx4 v[151:154], v[159:160], off offset:48
	global_load_dwordx4 v[155:158], v[159:160], off offset:32
	s_nop 0
	global_load_dwordx4 v[159:162], v[159:160], off offset:16
	v_fma_f64 v[68:69], v[191:192], s[14:15], v[68:69]
	v_add_f64 v[104:105], v[163:164], v[104:105]
	v_add_f64 v[60:61], v[199:200], -v[201:202]
	v_fma_f64 v[106:107], v[169:170], s[14:15], v[106:107]
	v_add_f64 v[94:95], v[199:200], v[201:202]
	v_fma_f64 v[132:133], v[165:166], s[14:15], v[132:133]
	global_load_dwordx4 v[163:166], v[167:168], off offset:608
	v_add_f64 v[98:99], v[26:27], v[98:99]
	v_mul_f64 v[169:170], v[68:69], s[10:11]
	v_fma_f64 v[120:121], v[144:145], s[12:13], v[120:121]
	v_add_f64 v[144:145], v[34:35], v[38:39]
	v_mul_f64 v[191:192], v[8:9], s[12:13]
	v_fma_f64 v[64:65], v[64:65], s[14:15], v[102:103]
	v_add_f64 v[26:27], v[26:27], -v[30:31]
	v_add_f64 v[203:204], v[124:125], v[128:129]
	v_add_f64 v[98:99], v[16:17], v[98:99]
	v_fma_f64 v[199:200], v[106:107], s[14:15], v[169:170]
	global_load_dwordx4 v[167:170], v[167:168], off offset:672
	v_fma_f64 v[102:103], v[144:145], -0.5, v[2:3]
	v_fma_f64 v[120:121], v[100:101], s[14:15], v[120:121]
	v_fma_f64 v[144:145], v[132:133], s[16:17], v[191:192]
	v_add_f64 v[100:101], v[183:184], v[104:105]
	v_add_f64 v[183:184], v[124:125], -v[34:35]
	v_add_f64 v[98:99], v[72:73], v[98:99]
	v_add_f64 v[191:192], v[128:129], -v[38:39]
	v_add_f64 v[16:17], v[16:17], -v[72:73]
	v_fma_f64 v[201:202], v[26:27], s[10:11], v[102:103]
	v_fma_f64 v[102:103], v[26:27], s[4:5], v[102:103]
	v_add_f64 v[104:105], v[64:65], -v[199:200]
	v_add_f64 v[72:73], v[108:109], v[100:101]
	v_add_f64 v[4:5], v[12:13], -v[20:21]
	v_add_f64 v[30:31], v[30:31], v[98:99]
	v_add_f64 v[98:99], v[183:184], v[191:192]
	v_fma_f64 v[183:184], v[203:204], -0.5, v[2:3]
	v_fma_f64 v[191:192], v[16:17], s[12:13], v[201:202]
	v_add_f64 v[201:202], v[38:39], -v[128:129]
	v_add_f64 v[2:3], v[2:3], v[124:125]
	v_add_f64 v[72:73], v[173:174], v[72:73]
	v_mul_f64 v[173:174], v[179:180], s[16:17]
	v_add_f64 v[179:180], v[34:35], -v[124:125]
	v_add_f64 v[124:125], v[171:172], v[187:188]
	v_fma_f64 v[171:172], v[16:17], s[4:5], v[183:184]
	v_fma_f64 v[183:184], v[16:17], s[10:11], v[183:184]
	;; [unrolled: 1-line block ×4, first 2 shown]
	v_add_f64 v[2:3], v[2:3], v[34:35]
	v_fma_f64 v[191:192], v[177:178], s[6:7], -v[173:174]
	v_add_f64 v[173:174], v[179:180], v[201:202]
	v_add_f64 v[34:35], v[181:182], v[124:125]
	v_fma_f64 v[124:125], v[26:27], s[12:13], v[171:172]
	v_mul_f64 v[171:172], v[189:190], s[14:15]
	v_fma_f64 v[26:27], v[26:27], s[6:7], v[183:184]
	v_mul_f64 v[102:103], v[132:133], s[6:7]
	v_fma_f64 v[132:133], v[98:99], s[14:15], v[16:17]
	v_add_f64 v[2:3], v[2:3], v[38:39]
	v_add_f64 v[177:178], v[12:13], v[20:21]
	v_add_f64 v[34:35], v[185:186], v[34:35]
	v_fma_f64 v[38:39], v[173:174], s[14:15], v[124:125]
	v_fma_f64 v[124:125], v[193:194], s[4:5], -v[171:172]
	v_fma_f64 v[26:27], v[173:174], s[14:15], v[26:27]
	v_fma_f64 v[183:184], v[8:9], s[16:17], v[102:103]
	v_add_f64 v[173:174], v[30:31], -v[72:73]
	v_add_f64 v[8:9], v[64:65], v[199:200]
	v_add_f64 v[108:109], v[120:121], -v[144:145]
	v_add_f64 v[34:35], v[175:176], v[34:35]
	v_add_f64 v[12:13], v[120:121], v[144:145]
	v_add_f64 v[98:99], v[38:39], -v[124:125]
	v_add_f64 v[179:180], v[38:39], v[124:125]
	s_waitcnt vmcnt(7)
	v_mul_f64 v[16:17], v[114:115], v[130:131]
	v_mul_f64 v[106:107], v[106:107], s[4:5]
	s_waitcnt vmcnt(5)
	v_mul_f64 v[175:176], v[147:148], v[118:119]
	v_mul_f64 v[38:39], v[149:150], v[118:119]
	v_add_f64 v[128:129], v[128:129], v[2:3]
	v_mov_b32_e32 v135, v139
	s_movk_i32 s0, 0x2000
	v_add_f64 v[181:182], v[195:196], v[197:198]
	v_fma_f64 v[64:65], v[24:25], v[116:117], v[16:17]
	v_add_f64 v[16:17], v[30:31], v[72:73]
	v_mul_f64 v[116:117], v[116:117], v[130:131]
	s_waitcnt vmcnt(2)
	v_mul_f64 v[30:31], v[159:160], v[122:123]
	v_mul_f64 v[72:73], v[161:162], v[122:123]
	;; [unrolled: 1-line block ×3, first 2 shown]
	v_fma_f64 v[120:121], v[32:33], v[149:150], v[175:176]
	v_fma_f64 v[32:33], v[32:33], v[147:148], -v[38:39]
	v_mul_f64 v[38:39], v[157:158], v[70:71]
	v_fma_f64 v[68:69], v[68:69], s[14:15], v[106:107]
	s_waitcnt vmcnt(1)
	v_mul_f64 v[124:125], v[165:166], v[74:75]
	v_fma_f64 v[30:31], v[36:37], v[161:162], v[30:31]
	v_fma_f64 v[36:37], v[36:37], v[159:160], -v[72:73]
	v_fma_f64 v[72:73], v[24:25], v[114:115], -v[116:117]
	v_mul_f64 v[24:25], v[112:113], v[62:63]
	v_fma_f64 v[122:123], v[28:29], v[153:154], v[20:21]
	v_mul_f64 v[20:21], v[153:154], v[126:127]
	v_mul_f64 v[74:75], v[163:164], v[74:75]
	v_fma_f64 v[114:115], v[22:23], v[163:164], -v[124:125]
	v_mul_f64 v[124:125], v[142:143], v[56:57]
	v_fma_f64 v[38:39], v[14:15], v[155:156], -v[38:39]
	s_waitcnt vmcnt(0)
	v_mul_f64 v[116:117], v[169:170], v[66:67]
	v_fma_f64 v[126:127], v[10:11], v[110:111], -v[24:25]
	v_mul_f64 v[24:25], v[155:156], v[70:71]
	v_mul_f64 v[62:63], v[110:111], v[62:63]
	;; [unrolled: 1-line block ×3, first 2 shown]
	v_fma_f64 v[22:23], v[22:23], v[165:166], v[74:75]
	v_mul_f64 v[56:57], v[140:141], v[56:57]
	v_fma_f64 v[28:29], v[28:29], v[151:152], -v[20:21]
	v_add_f64 v[20:21], v[120:121], v[30:31]
	v_fma_f64 v[70:71], v[18:19], v[167:168], -v[116:117]
	v_fma_f64 v[74:75], v[14:15], v[157:158], v[24:25]
	v_fma_f64 v[110:111], v[6:7], v[140:141], -v[124:125]
	v_add_f64 v[116:117], v[114:115], v[38:39]
	v_fma_f64 v[62:63], v[10:11], v[112:113], v[62:63]
	v_fma_f64 v[18:19], v[18:19], v[169:170], v[66:67]
	;; [unrolled: 1-line block ×3, first 2 shown]
	v_fma_f64 v[112:113], v[20:21], -0.5, v[96:97]
	v_add_f64 v[10:11], v[126:127], -v[114:115]
	v_add_f64 v[6:7], v[22:23], v[74:75]
	v_add_f64 v[14:15], v[70:71], -v[38:39]
	v_fma_f64 v[20:21], v[116:117], -0.5, v[110:111]
	v_add_f64 v[142:143], v[126:127], -v[70:71]
	v_add_f64 v[24:25], v[62:63], -v[18:19]
	v_add_f64 v[140:141], v[62:63], v[18:19]
	v_add_f64 v[66:67], v[72:73], -v[28:29]
	v_add_f64 v[149:150], v[114:115], -v[38:39]
	v_fma_f64 v[144:145], v[6:7], -0.5, v[56:57]
	v_add_f64 v[147:148], v[10:11], v[14:15]
	v_add_f64 v[10:11], v[126:127], v[70:71]
	v_add_f64 v[14:15], v[62:63], -v[22:23]
	v_fma_f64 v[6:7], v[24:25], s[10:11], v[20:21]
	v_fma_f64 v[140:141], v[140:141], -0.5, v[56:57]
	v_add_f64 v[151:152], v[18:19], -v[74:75]
	v_add_f64 v[155:156], v[64:65], v[122:123]
	v_fma_f64 v[153:154], v[142:143], s[4:5], v[144:145]
	v_add_f64 v[157:158], v[22:23], -v[74:75]
	v_add_f64 v[118:119], v[64:65], -v[120:121]
	;; [unrolled: 1-line block ×4, first 2 shown]
	v_fma_f64 v[130:131], v[66:67], s[4:5], v[112:113]
	v_fma_f64 v[10:11], v[10:11], -0.5, v[110:111]
	v_add_f64 v[159:160], v[22:23], -v[62:63]
	v_add_f64 v[161:162], v[74:75], -v[18:19]
	v_fma_f64 v[163:164], v[149:150], s[10:11], v[140:141]
	v_add_f64 v[151:152], v[14:15], v[151:152]
	v_fma_f64 v[14:15], v[149:150], s[6:7], v[153:154]
	v_fma_f64 v[153:154], v[155:156], -0.5, v[96:97]
	v_fma_f64 v[6:7], v[157:158], s[12:13], v[6:7]
	v_add_f64 v[102:103], v[26:27], -v[68:69]
	v_add_f64 v[155:156], v[114:115], -v[126:127]
	;; [unrolled: 1-line block ×3, first 2 shown]
	v_fma_f64 v[167:168], v[157:158], s[4:5], v[10:11]
	v_add_f64 v[159:160], v[159:160], v[161:162]
	v_fma_f64 v[161:162], v[142:143], s[6:7], v[163:164]
	v_fma_f64 v[163:164], v[151:152], s[14:15], v[14:15]
	v_add_f64 v[14:15], v[120:121], -v[64:65]
	v_add_f64 v[169:170], v[30:31], -v[122:123]
	v_fma_f64 v[185:186], v[124:125], s[10:11], v[153:154]
	v_add_f64 v[116:117], v[118:119], v[116:117]
	v_fma_f64 v[118:119], v[124:125], s[6:7], v[130:131]
	v_fma_f64 v[130:131], v[147:148], s[14:15], v[6:7]
	v_add_f64 v[6:7], v[26:27], v[68:69]
	v_fma_f64 v[26:27], v[124:125], s[4:5], v[153:154]
	v_add_f64 v[106:107], v[132:133], -v[183:184]
	v_add_f64 v[155:156], v[155:156], v[165:166]
	v_fma_f64 v[165:166], v[24:25], s[12:13], v[167:168]
	v_mul_f64 v[167:168], v[163:164], s[16:17]
	v_add_f64 v[169:170], v[14:15], v[169:170]
	v_fma_f64 v[14:15], v[66:67], s[6:7], v[185:186]
	v_fma_f64 v[153:154], v[157:158], s[10:11], v[10:11]
	v_fma_f64 v[140:141], v[149:150], s[4:5], v[140:141]
	v_add_f64 v[10:11], v[132:133], v[183:184]
	v_fma_f64 v[26:27], v[66:67], s[12:13], v[26:27]
	v_fma_f64 v[132:133], v[24:25], s[4:5], v[20:21]
	v_add_f64 v[96:97], v[64:65], v[96:97]
	v_add_f64 v[56:57], v[62:63], v[56:57]
	v_add_f64 v[171:172], v[128:129], -v[34:35]
	v_fma_f64 v[68:69], v[116:117], s[14:15], v[118:119]
	v_fma_f64 v[118:119], v[130:131], s[12:13], -v[167:168]
	v_fma_f64 v[167:168], v[169:170], s[14:15], v[14:15]
	v_add_f64 v[14:15], v[128:129], v[34:35]
	v_fma_f64 v[34:35], v[24:25], s[6:7], v[153:154]
	v_fma_f64 v[128:129], v[142:143], s[12:13], v[140:141]
	;; [unrolled: 1-line block ×6, first 2 shown]
	v_add_f64 v[62:63], v[120:121], v[96:97]
	v_add_f64 v[22:23], v[22:23], v[56:57]
	v_fma_f64 v[34:35], v[155:156], s[14:15], v[34:35]
	v_add_f64 v[132:133], v[32:33], v[36:37]
	v_fma_f64 v[128:129], v[159:160], s[14:15], v[128:129]
	v_fma_f64 v[112:113], v[149:150], s[12:13], v[140:141]
	;; [unrolled: 1-line block ×4, first 2 shown]
	v_add_f64 v[62:63], v[30:31], v[62:63]
	v_add_f64 v[147:148], v[72:73], v[28:29]
	v_add_f64 v[22:23], v[74:75], v[22:23]
	v_mul_f64 v[96:97], v[34:35], s[10:11]
	v_fma_f64 v[132:133], v[132:133], -0.5, v[0:1]
	v_add_f64 v[64:65], v[64:65], -v[122:123]
	v_add_f64 v[124:125], v[72:73], -v[32:33]
	;; [unrolled: 1-line block ×4, first 2 shown]
	v_fma_f64 v[66:67], v[116:117], s[14:15], v[66:67]
	v_add_f64 v[62:63], v[122:123], v[62:63]
	v_fma_f64 v[116:117], v[147:148], -0.5, v[0:1]
	v_add_f64 v[122:123], v[18:19], v[22:23]
	v_add_f64 v[22:23], v[32:33], -v[72:73]
	v_add_f64 v[0:1], v[0:1], v[72:73]
	v_add_f64 v[72:73], v[126:127], v[110:111]
	v_fma_f64 v[165:166], v[155:156], s[14:15], v[165:166]
	v_fma_f64 v[74:75], v[128:129], s[14:15], v[96:97]
	v_add_f64 v[96:97], v[124:125], v[140:141]
	v_mul_f64 v[18:19], v[130:131], s[16:17]
	v_add_f64 v[124:125], v[36:37], -v[28:29]
	v_fma_f64 v[110:111], v[30:31], s[4:5], v[116:117]
	v_fma_f64 v[116:117], v[30:31], s[10:11], v[116:117]
	v_add_f64 v[0:1], v[0:1], v[32:33]
	v_add_f64 v[32:33], v[114:115], v[72:73]
	v_fma_f64 v[161:162], v[159:160], s[14:15], v[161:162]
	v_fma_f64 v[144:145], v[64:65], s[10:11], v[132:133]
	;; [unrolled: 1-line block ×3, first 2 shown]
	v_mul_f64 v[56:57], v[26:27], s[12:13]
	v_fma_f64 v[126:127], v[163:164], s[6:7], -v[18:19]
	v_fma_f64 v[18:19], v[64:65], s[4:5], v[132:133]
	v_add_f64 v[22:23], v[22:23], v[124:125]
	v_fma_f64 v[72:73], v[64:65], s[12:13], v[110:111]
	v_mul_f64 v[110:111], v[165:166], s[14:15]
	v_fma_f64 v[64:65], v[64:65], s[6:7], v[116:117]
	v_mul_f64 v[114:115], v[128:129], s[4:5]
	v_add_f64 v[0:1], v[0:1], v[36:37]
	v_add_f64 v[32:33], v[38:39], v[32:33]
	v_mul_f64 v[185:186], v[161:162], s[14:15]
	v_fma_f64 v[120:121], v[30:31], s[12:13], v[144:145]
	v_fma_f64 v[56:57], v[112:113], s[16:17], v[56:57]
	;; [unrolled: 1-line block ×3, first 2 shown]
	v_mul_f64 v[30:31], v[112:113], s[6:7]
	v_fma_f64 v[38:39], v[22:23], s[14:15], v[72:73]
	v_fma_f64 v[110:111], v[161:162], s[4:5], -v[110:111]
	v_fma_f64 v[124:125], v[22:23], s[14:15], v[64:65]
	v_fma_f64 v[114:115], v[34:35], s[14:15], v[114:115]
	v_add_f64 v[0:1], v[28:29], v[0:1]
	v_add_f64 v[130:131], v[70:71], v[32:33]
	v_fma_f64 v[185:186], v[165:166], s[10:11], -v[185:186]
	v_fma_f64 v[120:121], v[96:97], s[14:15], v[120:121]
	v_fma_f64 v[128:129], v[26:27], s[16:17], v[30:31]
	v_add_f64 v[32:33], v[66:67], -v[56:57]
	v_add_f64 v[22:23], v[38:39], -v[110:111]
	;; [unrolled: 1-line block ×3, first 2 shown]
	v_add_f64 v[112:113], v[66:67], v[56:57]
	v_add_f64 v[34:35], v[0:1], -v[130:131]
	v_add_f64 v[66:67], v[38:39], v[110:111]
	v_add_f64 v[70:71], v[124:125], v[114:115]
	;; [unrolled: 1-line block ×3, first 2 shown]
	v_mov_b32_e32 v0, s3
	v_add_co_u32_e32 v38, vcc, s2, v136
	v_fma_f64 v[96:97], v[96:97], s[14:15], v[18:19]
	v_add_f64 v[72:73], v[142:143], v[74:75]
	v_addc_co_u32_e32 v39, vcc, v0, v137, vcc
	v_lshlrev_b64 v[0:1], 4, v[134:135]
	v_add_f64 v[20:21], v[68:69], -v[118:119]
	v_add_f64 v[64:65], v[68:69], v[118:119]
	v_add_f64 v[68:69], v[167:168], v[185:186]
	v_add_co_u32_e32 v0, vcc, v38, v0
	v_addc_co_u32_e32 v1, vcc, v39, v1, vcc
	v_add_f64 v[36:37], v[62:63], -v[122:123]
	v_add_f64 v[116:117], v[62:63], v[122:123]
	v_add_f64 v[62:63], v[120:121], v[126:127]
	v_add_co_u32_e32 v38, vcc, s21, v0
	v_addc_co_u32_e32 v39, vcc, 0, v1, vcc
	v_add_co_u32_e32 v56, vcc, s0, v0
	v_addc_co_u32_e32 v57, vcc, 0, v1, vcc
	v_add_f64 v[30:31], v[96:97], -v[128:129]
	global_store_dwordx4 v[56:57], v[70:73], off offset:1408
	v_add_f64 v[28:29], v[142:143], -v[74:75]
	v_add_co_u32_e32 v70, vcc, s20, v0
	v_addc_co_u32_e32 v71, vcc, 0, v1, vcc
	global_store_dwordx4 v[70:71], v[66:69], off offset:2112
	v_add_f64 v[24:25], v[167:168], -v[185:186]
	v_add_co_u32_e32 v66, vcc, s18, v0
	v_addc_co_u32_e32 v67, vcc, 0, v1, vcc
	global_store_dwordx4 v[66:67], v[62:65], off offset:2816
	s_movk_i32 s0, 0x7000
	v_add_co_u32_e32 v62, vcc, s19, v0
	v_addc_co_u32_e32 v63, vcc, 0, v1, vcc
	v_add_f64 v[18:19], v[120:121], -v[126:127]
	v_add_f64 v[110:111], v[96:97], v[128:129]
	global_store_dwordx4 v[62:63], v[34:37], off offset:3520
	s_mov_b32 s2, 0x9000
	v_add_co_u32_e32 v34, vcc, s0, v0
	v_addc_co_u32_e32 v35, vcc, 0, v1, vcc
	global_store_dwordx4 v[34:35], v[30:33], off offset:128
	v_add_f64 v[175:176], v[187:188], v[191:192]
	v_add_co_u32_e32 v30, vcc, s1, v0
	v_addc_co_u32_e32 v31, vcc, 0, v1, vcc
	global_store_dwordx4 v[30:31], v[26:29], off offset:832
	v_add_f64 v[100:101], v[195:196], -v[197:198]
	v_add_co_u32_e32 v26, vcc, s2, v0
	v_addc_co_u32_e32 v27, vcc, 0, v1, vcc
	s_mov_b32 s2, 0xa000
	global_store_dwordx4 v[26:27], v[22:25], off offset:1536
	v_add_f64 v[2:3], v[187:188], -v[191:192]
	v_add_co_u32_e32 v22, vcc, s2, v0
	v_addc_co_u32_e32 v23, vcc, 0, v1, vcc
	s_movk_i32 s2, 0x6000
	global_store_dwordx4 v[0:1], v[114:117], off
	global_store_dwordx4 v[38:39], v[110:113], off offset:704
	global_store_dwordx4 v[22:23], v[18:21], off offset:2240
	;; [unrolled: 1-line block ×7, first 2 shown]
	v_add_co_u32_e32 v6, vcc, s2, v0
	v_addc_co_u32_e32 v7, vcc, 0, v1, vcc
	s_mov_b32 s3, 0x1b4e81b5
	global_store_dwordx4 v[6:7], v[171:174], off offset:1024
	global_store_dwordx4 v[34:35], v[106:109], off offset:1728
	v_mul_hi_u32 v6, v146, s3
	global_store_dwordx4 v[30:31], v[102:105], off offset:2432
	global_store_dwordx4 v[26:27], v[98:101], off offset:3136
	;; [unrolled: 1-line block ×3, first 2 shown]
	s_nop 0
	v_lshrrev_b32_e32 v2, 5, v6
	v_mul_u32_u24_e32 v138, 0xa8c, v2
	v_lshlrev_b64 v[2:3], 4, v[138:139]
	v_add_co_u32_e32 v0, vcc, v0, v2
	v_addc_co_u32_e32 v1, vcc, v1, v3, vcc
	v_add_co_u32_e32 v2, vcc, s21, v0
	v_addc_co_u32_e32 v3, vcc, 0, v1, vcc
	global_store_dwordx4 v[2:3], v[88:91], off offset:3904
	v_add_co_u32_e32 v2, vcc, s20, v0
	v_addc_co_u32_e32 v3, vcc, 0, v1, vcc
	global_store_dwordx4 v[2:3], v[84:87], off offset:512
	v_add_co_u32_e32 v2, vcc, s18, v0
	v_addc_co_u32_e32 v3, vcc, 0, v1, vcc
	global_store_dwordx4 v[2:3], v[80:83], off offset:1216
	v_add_co_u32_e32 v2, vcc, s19, v0
	v_addc_co_u32_e32 v3, vcc, 0, v1, vcc
	global_store_dwordx4 v[2:3], v[76:79], off offset:1920
	v_add_co_u32_e32 v2, vcc, s2, v0
	v_addc_co_u32_e32 v3, vcc, 0, v1, vcc
	global_store_dwordx4 v[2:3], v[58:61], off offset:2624
	v_add_co_u32_e32 v2, vcc, s0, v0
	v_addc_co_u32_e32 v3, vcc, 0, v1, vcc
	global_store_dwordx4 v[2:3], v[52:55], off offset:3328
	v_add_co_u32_e32 v2, vcc, s1, v0
	v_addc_co_u32_e32 v3, vcc, 0, v1, vcc
	global_store_dwordx4 v[2:3], v[48:51], off offset:4032
	v_add_co_u32_e32 v2, vcc, 0xa000, v0
	v_addc_co_u32_e32 v3, vcc, 0, v1, vcc
	global_store_dwordx4 v[0:1], v[92:95], off offset:3200
	v_add_co_u32_e32 v0, vcc, 0xb000, v0
	v_addc_co_u32_e32 v1, vcc, 0, v1, vcc
	global_store_dwordx4 v[2:3], v[44:47], off offset:640
	global_store_dwordx4 v[0:1], v[40:43], off offset:1344
.LBB0_13:
	s_endpgm
	.section	.rodata,"a",@progbits
	.p2align	6, 0x0
	.amdhsa_kernel fft_rtc_fwd_len3000_factors_10_3_10_10_wgs_100_tpt_100_halfLds_dp_ip_CI_unitstride_sbrr_dirReg
		.amdhsa_group_segment_fixed_size 0
		.amdhsa_private_segment_fixed_size 0
		.amdhsa_kernarg_size 88
		.amdhsa_user_sgpr_count 6
		.amdhsa_user_sgpr_private_segment_buffer 1
		.amdhsa_user_sgpr_dispatch_ptr 0
		.amdhsa_user_sgpr_queue_ptr 0
		.amdhsa_user_sgpr_kernarg_segment_ptr 1
		.amdhsa_user_sgpr_dispatch_id 0
		.amdhsa_user_sgpr_flat_scratch_init 0
		.amdhsa_user_sgpr_private_segment_size 0
		.amdhsa_uses_dynamic_stack 0
		.amdhsa_system_sgpr_private_segment_wavefront_offset 0
		.amdhsa_system_sgpr_workgroup_id_x 1
		.amdhsa_system_sgpr_workgroup_id_y 0
		.amdhsa_system_sgpr_workgroup_id_z 0
		.amdhsa_system_sgpr_workgroup_info 0
		.amdhsa_system_vgpr_workitem_id 0
		.amdhsa_next_free_vgpr 214
		.amdhsa_next_free_sgpr 24
		.amdhsa_reserve_vcc 1
		.amdhsa_reserve_flat_scratch 0
		.amdhsa_float_round_mode_32 0
		.amdhsa_float_round_mode_16_64 0
		.amdhsa_float_denorm_mode_32 3
		.amdhsa_float_denorm_mode_16_64 3
		.amdhsa_dx10_clamp 1
		.amdhsa_ieee_mode 1
		.amdhsa_fp16_overflow 0
		.amdhsa_exception_fp_ieee_invalid_op 0
		.amdhsa_exception_fp_denorm_src 0
		.amdhsa_exception_fp_ieee_div_zero 0
		.amdhsa_exception_fp_ieee_overflow 0
		.amdhsa_exception_fp_ieee_underflow 0
		.amdhsa_exception_fp_ieee_inexact 0
		.amdhsa_exception_int_div_zero 0
	.end_amdhsa_kernel
	.text
.Lfunc_end0:
	.size	fft_rtc_fwd_len3000_factors_10_3_10_10_wgs_100_tpt_100_halfLds_dp_ip_CI_unitstride_sbrr_dirReg, .Lfunc_end0-fft_rtc_fwd_len3000_factors_10_3_10_10_wgs_100_tpt_100_halfLds_dp_ip_CI_unitstride_sbrr_dirReg
                                        ; -- End function
	.section	.AMDGPU.csdata,"",@progbits
; Kernel info:
; codeLenInByte = 19904
; NumSgprs: 28
; NumVgprs: 214
; ScratchSize: 0
; MemoryBound: 1
; FloatMode: 240
; IeeeMode: 1
; LDSByteSize: 0 bytes/workgroup (compile time only)
; SGPRBlocks: 3
; VGPRBlocks: 53
; NumSGPRsForWavesPerEU: 28
; NumVGPRsForWavesPerEU: 214
; Occupancy: 1
; WaveLimiterHint : 1
; COMPUTE_PGM_RSRC2:SCRATCH_EN: 0
; COMPUTE_PGM_RSRC2:USER_SGPR: 6
; COMPUTE_PGM_RSRC2:TRAP_HANDLER: 0
; COMPUTE_PGM_RSRC2:TGID_X_EN: 1
; COMPUTE_PGM_RSRC2:TGID_Y_EN: 0
; COMPUTE_PGM_RSRC2:TGID_Z_EN: 0
; COMPUTE_PGM_RSRC2:TIDIG_COMP_CNT: 0
	.type	__hip_cuid_6358dc7b52a53085,@object ; @__hip_cuid_6358dc7b52a53085
	.section	.bss,"aw",@nobits
	.globl	__hip_cuid_6358dc7b52a53085
__hip_cuid_6358dc7b52a53085:
	.byte	0                               ; 0x0
	.size	__hip_cuid_6358dc7b52a53085, 1

	.ident	"AMD clang version 19.0.0git (https://github.com/RadeonOpenCompute/llvm-project roc-6.4.0 25133 c7fe45cf4b819c5991fe208aaa96edf142730f1d)"
	.section	".note.GNU-stack","",@progbits
	.addrsig
	.addrsig_sym __hip_cuid_6358dc7b52a53085
	.amdgpu_metadata
---
amdhsa.kernels:
  - .args:
      - .actual_access:  read_only
        .address_space:  global
        .offset:         0
        .size:           8
        .value_kind:     global_buffer
      - .offset:         8
        .size:           8
        .value_kind:     by_value
      - .actual_access:  read_only
        .address_space:  global
        .offset:         16
        .size:           8
        .value_kind:     global_buffer
      - .actual_access:  read_only
        .address_space:  global
        .offset:         24
        .size:           8
        .value_kind:     global_buffer
      - .offset:         32
        .size:           8
        .value_kind:     by_value
      - .actual_access:  read_only
        .address_space:  global
        .offset:         40
        .size:           8
        .value_kind:     global_buffer
      - .actual_access:  read_only
        .address_space:  global
        .offset:         48
        .size:           8
        .value_kind:     global_buffer
      - .offset:         56
        .size:           4
        .value_kind:     by_value
      - .actual_access:  read_only
        .address_space:  global
        .offset:         64
        .size:           8
        .value_kind:     global_buffer
      - .actual_access:  read_only
        .address_space:  global
        .offset:         72
        .size:           8
        .value_kind:     global_buffer
      - .address_space:  global
        .offset:         80
        .size:           8
        .value_kind:     global_buffer
    .group_segment_fixed_size: 0
    .kernarg_segment_align: 8
    .kernarg_segment_size: 88
    .language:       OpenCL C
    .language_version:
      - 2
      - 0
    .max_flat_workgroup_size: 100
    .name:           fft_rtc_fwd_len3000_factors_10_3_10_10_wgs_100_tpt_100_halfLds_dp_ip_CI_unitstride_sbrr_dirReg
    .private_segment_fixed_size: 0
    .sgpr_count:     28
    .sgpr_spill_count: 0
    .symbol:         fft_rtc_fwd_len3000_factors_10_3_10_10_wgs_100_tpt_100_halfLds_dp_ip_CI_unitstride_sbrr_dirReg.kd
    .uniform_work_group_size: 1
    .uses_dynamic_stack: false
    .vgpr_count:     214
    .vgpr_spill_count: 0
    .wavefront_size: 64
amdhsa.target:   amdgcn-amd-amdhsa--gfx906
amdhsa.version:
  - 1
  - 2
...

	.end_amdgpu_metadata
